;; amdgpu-corpus repo=ROCm/rocFFT kind=compiled arch=gfx906 opt=O3
	.text
	.amdgcn_target "amdgcn-amd-amdhsa--gfx906"
	.amdhsa_code_object_version 6
	.protected	fft_rtc_fwd_len1734_factors_17_17_6_wgs_102_tpt_102_halfLds_sp_op_CI_CI_unitstride_sbrr_dirReg ; -- Begin function fft_rtc_fwd_len1734_factors_17_17_6_wgs_102_tpt_102_halfLds_sp_op_CI_CI_unitstride_sbrr_dirReg
	.globl	fft_rtc_fwd_len1734_factors_17_17_6_wgs_102_tpt_102_halfLds_sp_op_CI_CI_unitstride_sbrr_dirReg
	.p2align	8
	.type	fft_rtc_fwd_len1734_factors_17_17_6_wgs_102_tpt_102_halfLds_sp_op_CI_CI_unitstride_sbrr_dirReg,@function
fft_rtc_fwd_len1734_factors_17_17_6_wgs_102_tpt_102_halfLds_sp_op_CI_CI_unitstride_sbrr_dirReg: ; @fft_rtc_fwd_len1734_factors_17_17_6_wgs_102_tpt_102_halfLds_sp_op_CI_CI_unitstride_sbrr_dirReg
; %bb.0:
	s_load_dwordx4 s[12:15], s[4:5], 0x58
	s_load_dwordx4 s[8:11], s[4:5], 0x0
	;; [unrolled: 1-line block ×3, first 2 shown]
	v_mul_u32_u24_e32 v1, 0x283, v0
	v_mov_b32_e32 v5, 0
	v_mov_b32_e32 v33, 0
	s_waitcnt lgkmcnt(0)
	v_cmp_lt_u64_e64 s[0:1], s[10:11], 2
	v_add_u32_sdwa v7, s6, v1 dst_sel:DWORD dst_unused:UNUSED_PAD src0_sel:DWORD src1_sel:WORD_1
	v_mov_b32_e32 v8, v5
	s_and_b64 vcc, exec, s[0:1]
	v_mov_b32_e32 v34, 0
	s_cbranch_vccnz .LBB0_8
; %bb.1:
	s_load_dwordx2 s[0:1], s[4:5], 0x10
	s_add_u32 s2, s18, 8
	s_addc_u32 s3, s19, 0
	s_add_u32 s6, s16, 8
	s_addc_u32 s7, s17, 0
	v_mov_b32_e32 v33, 0
	s_waitcnt lgkmcnt(0)
	s_add_u32 s20, s0, 8
	v_mov_b32_e32 v34, 0
	v_mov_b32_e32 v1, v33
	s_addc_u32 s21, s1, 0
	s_mov_b64 s[22:23], 1
	v_mov_b32_e32 v2, v34
.LBB0_2:                                ; =>This Inner Loop Header: Depth=1
	s_load_dwordx2 s[24:25], s[20:21], 0x0
                                        ; implicit-def: $vgpr3_vgpr4
	s_waitcnt lgkmcnt(0)
	v_or_b32_e32 v6, s25, v8
	v_cmp_ne_u64_e32 vcc, 0, v[5:6]
	s_and_saveexec_b64 s[0:1], vcc
	s_xor_b64 s[26:27], exec, s[0:1]
	s_cbranch_execz .LBB0_4
; %bb.3:                                ;   in Loop: Header=BB0_2 Depth=1
	v_cvt_f32_u32_e32 v3, s24
	v_cvt_f32_u32_e32 v4, s25
	s_sub_u32 s0, 0, s24
	s_subb_u32 s1, 0, s25
	v_mac_f32_e32 v3, 0x4f800000, v4
	v_rcp_f32_e32 v3, v3
	v_mul_f32_e32 v3, 0x5f7ffffc, v3
	v_mul_f32_e32 v4, 0x2f800000, v3
	v_trunc_f32_e32 v4, v4
	v_mac_f32_e32 v3, 0xcf800000, v4
	v_cvt_u32_f32_e32 v4, v4
	v_cvt_u32_f32_e32 v3, v3
	v_mul_lo_u32 v6, s0, v4
	v_mul_hi_u32 v9, s0, v3
	v_mul_lo_u32 v11, s1, v3
	v_mul_lo_u32 v10, s0, v3
	v_add_u32_e32 v6, v9, v6
	v_add_u32_e32 v6, v6, v11
	v_mul_hi_u32 v9, v3, v10
	v_mul_lo_u32 v11, v3, v6
	v_mul_hi_u32 v13, v3, v6
	v_mul_hi_u32 v12, v4, v10
	v_mul_lo_u32 v10, v4, v10
	v_mul_hi_u32 v14, v4, v6
	v_add_co_u32_e32 v9, vcc, v9, v11
	v_addc_co_u32_e32 v11, vcc, 0, v13, vcc
	v_mul_lo_u32 v6, v4, v6
	v_add_co_u32_e32 v9, vcc, v9, v10
	v_addc_co_u32_e32 v9, vcc, v11, v12, vcc
	v_addc_co_u32_e32 v10, vcc, 0, v14, vcc
	v_add_co_u32_e32 v6, vcc, v9, v6
	v_addc_co_u32_e32 v9, vcc, 0, v10, vcc
	v_add_co_u32_e32 v3, vcc, v3, v6
	v_addc_co_u32_e32 v4, vcc, v4, v9, vcc
	v_mul_lo_u32 v6, s0, v4
	v_mul_hi_u32 v9, s0, v3
	v_mul_lo_u32 v10, s1, v3
	v_mul_lo_u32 v11, s0, v3
	v_add_u32_e32 v6, v9, v6
	v_add_u32_e32 v6, v6, v10
	v_mul_lo_u32 v12, v3, v6
	v_mul_hi_u32 v13, v3, v11
	v_mul_hi_u32 v14, v3, v6
	v_mul_hi_u32 v10, v4, v11
	v_mul_lo_u32 v11, v4, v11
	v_mul_hi_u32 v9, v4, v6
	v_add_co_u32_e32 v12, vcc, v13, v12
	v_addc_co_u32_e32 v13, vcc, 0, v14, vcc
	v_mul_lo_u32 v6, v4, v6
	v_add_co_u32_e32 v11, vcc, v12, v11
	v_addc_co_u32_e32 v10, vcc, v13, v10, vcc
	v_addc_co_u32_e32 v9, vcc, 0, v9, vcc
	v_add_co_u32_e32 v6, vcc, v10, v6
	v_addc_co_u32_e32 v9, vcc, 0, v9, vcc
	v_add_co_u32_e32 v6, vcc, v3, v6
	v_addc_co_u32_e32 v9, vcc, v4, v9, vcc
	v_mad_u64_u32 v[3:4], s[0:1], v7, v9, 0
	v_mul_hi_u32 v10, v7, v6
	v_add_co_u32_e32 v11, vcc, v10, v3
	v_addc_co_u32_e32 v12, vcc, 0, v4, vcc
	v_mad_u64_u32 v[3:4], s[0:1], v8, v6, 0
	v_mad_u64_u32 v[9:10], s[0:1], v8, v9, 0
	v_add_co_u32_e32 v3, vcc, v11, v3
	v_addc_co_u32_e32 v3, vcc, v12, v4, vcc
	v_addc_co_u32_e32 v4, vcc, 0, v10, vcc
	v_add_co_u32_e32 v6, vcc, v3, v9
	v_addc_co_u32_e32 v9, vcc, 0, v4, vcc
	v_mul_lo_u32 v10, s25, v6
	v_mul_lo_u32 v11, s24, v9
	v_mad_u64_u32 v[3:4], s[0:1], s24, v6, 0
	v_add3_u32 v4, v4, v11, v10
	v_sub_u32_e32 v10, v8, v4
	v_mov_b32_e32 v11, s25
	v_sub_co_u32_e32 v3, vcc, v7, v3
	v_subb_co_u32_e64 v10, s[0:1], v10, v11, vcc
	v_subrev_co_u32_e64 v11, s[0:1], s24, v3
	v_subbrev_co_u32_e64 v10, s[0:1], 0, v10, s[0:1]
	v_cmp_le_u32_e64 s[0:1], s25, v10
	v_cndmask_b32_e64 v12, 0, -1, s[0:1]
	v_cmp_le_u32_e64 s[0:1], s24, v11
	v_cndmask_b32_e64 v11, 0, -1, s[0:1]
	v_cmp_eq_u32_e64 s[0:1], s25, v10
	v_cndmask_b32_e64 v10, v12, v11, s[0:1]
	v_add_co_u32_e64 v11, s[0:1], 2, v6
	v_addc_co_u32_e64 v12, s[0:1], 0, v9, s[0:1]
	v_add_co_u32_e64 v13, s[0:1], 1, v6
	v_addc_co_u32_e64 v14, s[0:1], 0, v9, s[0:1]
	v_subb_co_u32_e32 v4, vcc, v8, v4, vcc
	v_cmp_ne_u32_e64 s[0:1], 0, v10
	v_cmp_le_u32_e32 vcc, s25, v4
	v_cndmask_b32_e64 v10, v14, v12, s[0:1]
	v_cndmask_b32_e64 v12, 0, -1, vcc
	v_cmp_le_u32_e32 vcc, s24, v3
	v_cndmask_b32_e64 v3, 0, -1, vcc
	v_cmp_eq_u32_e32 vcc, s25, v4
	v_cndmask_b32_e32 v3, v12, v3, vcc
	v_cmp_ne_u32_e32 vcc, 0, v3
	v_cndmask_b32_e64 v3, v13, v11, s[0:1]
	v_cndmask_b32_e32 v4, v9, v10, vcc
	v_cndmask_b32_e32 v3, v6, v3, vcc
.LBB0_4:                                ;   in Loop: Header=BB0_2 Depth=1
	s_andn2_saveexec_b64 s[0:1], s[26:27]
	s_cbranch_execz .LBB0_6
; %bb.5:                                ;   in Loop: Header=BB0_2 Depth=1
	v_cvt_f32_u32_e32 v3, s24
	s_sub_i32 s26, 0, s24
	v_rcp_iflag_f32_e32 v3, v3
	v_mul_f32_e32 v3, 0x4f7ffffe, v3
	v_cvt_u32_f32_e32 v3, v3
	v_mul_lo_u32 v4, s26, v3
	v_mul_hi_u32 v4, v3, v4
	v_add_u32_e32 v3, v3, v4
	v_mul_hi_u32 v3, v7, v3
	v_mul_lo_u32 v4, v3, s24
	v_add_u32_e32 v6, 1, v3
	v_sub_u32_e32 v4, v7, v4
	v_subrev_u32_e32 v9, s24, v4
	v_cmp_le_u32_e32 vcc, s24, v4
	v_cndmask_b32_e32 v4, v4, v9, vcc
	v_cndmask_b32_e32 v3, v3, v6, vcc
	v_add_u32_e32 v6, 1, v3
	v_cmp_le_u32_e32 vcc, s24, v4
	v_cndmask_b32_e32 v3, v3, v6, vcc
	v_mov_b32_e32 v4, v5
.LBB0_6:                                ;   in Loop: Header=BB0_2 Depth=1
	s_or_b64 exec, exec, s[0:1]
	v_mul_lo_u32 v6, v4, s24
	v_mul_lo_u32 v11, v3, s25
	v_mad_u64_u32 v[9:10], s[0:1], v3, s24, 0
	s_load_dwordx2 s[0:1], s[6:7], 0x0
	s_load_dwordx2 s[24:25], s[2:3], 0x0
	v_add3_u32 v6, v10, v11, v6
	v_sub_co_u32_e32 v7, vcc, v7, v9
	v_subb_co_u32_e32 v6, vcc, v8, v6, vcc
	s_waitcnt lgkmcnt(0)
	v_mul_lo_u32 v8, s0, v6
	v_mul_lo_u32 v9, s1, v7
	v_mad_u64_u32 v[33:34], s[0:1], s0, v7, v[33:34]
	v_mul_lo_u32 v6, s24, v6
	v_mul_lo_u32 v10, s25, v7
	v_mad_u64_u32 v[1:2], s[0:1], s24, v7, v[1:2]
	s_add_u32 s22, s22, 1
	s_addc_u32 s23, s23, 0
	s_add_u32 s2, s2, 8
	v_add3_u32 v2, v10, v2, v6
	s_addc_u32 s3, s3, 0
	v_mov_b32_e32 v6, s10
	s_add_u32 s6, s6, 8
	v_mov_b32_e32 v7, s11
	s_addc_u32 s7, s7, 0
	v_cmp_ge_u64_e32 vcc, s[22:23], v[6:7]
	s_add_u32 s20, s20, 8
	v_add3_u32 v34, v9, v34, v8
	s_addc_u32 s21, s21, 0
	s_cbranch_vccnz .LBB0_9
; %bb.7:                                ;   in Loop: Header=BB0_2 Depth=1
	v_mov_b32_e32 v8, v4
	v_mov_b32_e32 v7, v3
	s_branch .LBB0_2
.LBB0_8:
	v_mov_b32_e32 v1, v33
	v_mov_b32_e32 v3, v7
	;; [unrolled: 1-line block ×4, first 2 shown]
.LBB0_9:
	s_load_dwordx2 s[4:5], s[4:5], 0x28
	s_lshl_b64 s[6:7], s[10:11], 3
	s_add_u32 s2, s18, s6
	s_addc_u32 s3, s19, s7
                                        ; implicit-def: $sgpr10_sgpr11
                                        ; implicit-def: $vgpr41
	s_waitcnt lgkmcnt(0)
	v_cmp_gt_u64_e64 s[0:1], s[4:5], v[3:4]
	v_cmp_le_u64_e32 vcc, s[4:5], v[3:4]
	s_and_saveexec_b64 s[4:5], vcc
	s_xor_b64 s[4:5], exec, s[4:5]
; %bb.10:
	s_mov_b32 s10, 0x2828283
	v_mul_hi_u32 v5, v0, s10
	s_mov_b64 s[10:11], 0
                                        ; implicit-def: $vgpr33_vgpr34
	v_mul_u32_u24_e32 v5, 0x66, v5
	v_sub_u32_e32 v41, v0, v5
                                        ; implicit-def: $vgpr0
; %bb.11:
	s_or_saveexec_b64 s[4:5], s[4:5]
	v_mov_b32_e32 v36, s11
	v_mov_b32_e32 v35, s10
                                        ; implicit-def: $vgpr38
                                        ; implicit-def: $vgpr30
                                        ; implicit-def: $vgpr26
                                        ; implicit-def: $vgpr22
                                        ; implicit-def: $vgpr18
                                        ; implicit-def: $vgpr14
                                        ; implicit-def: $vgpr10
                                        ; implicit-def: $vgpr6
                                        ; implicit-def: $vgpr40
                                        ; implicit-def: $vgpr32
                                        ; implicit-def: $vgpr28
                                        ; implicit-def: $vgpr24
                                        ; implicit-def: $vgpr20
                                        ; implicit-def: $vgpr16
                                        ; implicit-def: $vgpr12
                                        ; implicit-def: $vgpr8
	s_xor_b64 exec, exec, s[4:5]
	s_cbranch_execz .LBB0_13
; %bb.12:
	s_add_u32 s6, s16, s6
	s_addc_u32 s7, s17, s7
	s_load_dwordx2 s[6:7], s[6:7], 0x0
	s_mov_b32 s10, 0x2828283
	v_mul_hi_u32 v7, v0, s10
	s_waitcnt lgkmcnt(0)
	v_mul_lo_u32 v8, s7, v3
	v_mul_lo_u32 v9, s6, v4
	v_mad_u64_u32 v[5:6], s[6:7], s6, v3, 0
	v_mul_u32_u24_e32 v7, 0x66, v7
	v_sub_u32_e32 v41, v0, v7
	v_add3_u32 v6, v6, v9, v8
	v_lshlrev_b64 v[5:6], 3, v[5:6]
	v_mov_b32_e32 v0, s13
	v_add_co_u32_e32 v7, vcc, s12, v5
	v_addc_co_u32_e32 v0, vcc, v0, v6, vcc
	v_lshlrev_b64 v[5:6], 3, v[33:34]
	s_movk_i32 s6, 0x1000
	v_add_co_u32_e32 v5, vcc, v7, v5
	v_addc_co_u32_e32 v0, vcc, v0, v6, vcc
	v_lshlrev_b32_e32 v6, 3, v41
	v_add_co_u32_e32 v5, vcc, v5, v6
	v_addc_co_u32_e32 v6, vcc, 0, v0, vcc
	v_add_co_u32_e32 v33, vcc, s6, v5
	v_addc_co_u32_e32 v34, vcc, 0, v6, vcc
	s_movk_i32 s6, 0x2000
	v_add_co_u32_e32 v42, vcc, s6, v5
	v_addc_co_u32_e32 v43, vcc, 0, v6, vcc
	v_add_co_u32_e32 v44, vcc, 0x3000, v5
	global_load_dwordx2 v[35:36], v[5:6], off
	global_load_dwordx2 v[37:38], v[5:6], off offset:816
	global_load_dwordx2 v[29:30], v[5:6], off offset:1632
	;; [unrolled: 1-line block ×7, first 2 shown]
	v_addc_co_u32_e32 v45, vcc, 0, v6, vcc
	global_load_dwordx2 v[5:6], v[33:34], off offset:2432
	global_load_dwordx2 v[7:8], v[33:34], off offset:3248
	;; [unrolled: 1-line block ×9, first 2 shown]
.LBB0_13:
	s_or_b64 exec, exec, s[4:5]
	s_waitcnt vmcnt(15)
	v_add_f32_e32 v0, v37, v35
	v_add_f32_e32 v33, v38, v36
	s_waitcnt vmcnt(14)
	v_add_f32_e32 v0, v29, v0
	v_add_f32_e32 v33, v30, v33
	s_waitcnt vmcnt(13)
	v_add_f32_e32 v0, v25, v0
	v_add_f32_e32 v33, v26, v33
	s_waitcnt vmcnt(12)
	v_add_f32_e32 v0, v21, v0
	v_add_f32_e32 v33, v22, v33
	s_waitcnt vmcnt(11)
	v_add_f32_e32 v0, v17, v0
	v_add_f32_e32 v33, v18, v33
	s_waitcnt vmcnt(10)
	v_add_f32_e32 v0, v13, v0
	v_add_f32_e32 v33, v14, v33
	s_waitcnt vmcnt(9)
	v_add_f32_e32 v0, v9, v0
	v_add_f32_e32 v33, v10, v33
	s_waitcnt vmcnt(8)
	v_add_f32_e32 v0, v5, v0
	v_add_f32_e32 v33, v6, v33
	s_waitcnt vmcnt(7)
	v_add_f32_e32 v0, v7, v0
	v_add_f32_e32 v33, v8, v33
	s_waitcnt vmcnt(6)
	v_add_f32_e32 v0, v11, v0
	v_add_f32_e32 v33, v12, v33
	s_waitcnt vmcnt(5)
	v_add_f32_e32 v0, v15, v0
	v_add_f32_e32 v33, v16, v33
	s_waitcnt vmcnt(4)
	v_add_f32_e32 v0, v19, v0
	v_add_f32_e32 v33, v20, v33
	s_waitcnt vmcnt(3)
	v_add_f32_e32 v0, v23, v0
	v_add_f32_e32 v33, v24, v33
	s_waitcnt vmcnt(2)
	v_add_f32_e32 v0, v27, v0
	v_add_f32_e32 v33, v28, v33
	s_waitcnt vmcnt(1)
	v_add_f32_e32 v0, v31, v0
	v_add_f32_e32 v34, v32, v33
	s_waitcnt vmcnt(0)
	v_add_f32_e32 v33, v39, v0
	v_add_f32_e32 v0, v40, v34
	v_add_f32_e32 v34, v37, v39
	v_sub_f32_e32 v37, v37, v39
	v_mul_f32_e32 v39, 0x3f6eb680, v34
	v_mul_f32_e32 v45, 0x3f3d2fb0, v34
	;; [unrolled: 1-line block ×8, first 2 shown]
	v_add_f32_e32 v42, v38, v40
	v_sub_f32_e32 v38, v38, v40
	v_mov_b32_e32 v40, v39
	v_mul_f32_e32 v43, 0xbeb8f4ab, v37
	v_mov_b32_e32 v46, v45
	v_mul_f32_e32 v47, 0xbf2c7751, v37
	;; [unrolled: 2-line block ×8, first 2 shown]
	s_mov_b32 s6, 0x3f6eb680
	v_fmac_f32_e32 v40, 0x3eb8f4ab, v38
	v_mov_b32_e32 v44, v43
	v_fmac_f32_e32 v39, 0xbeb8f4ab, v38
	s_mov_b32 s7, 0x3f3d2fb0
	v_fmac_f32_e32 v46, 0x3f2c7751, v38
	v_mov_b32_e32 v48, v47
	v_fmac_f32_e32 v45, 0xbf2c7751, v38
	;; [unrolled: 4-line block ×8, first 2 shown]
	v_add_f32_e32 v40, v40, v35
	v_fmac_f32_e32 v44, 0x3f6eb680, v42
	v_add_f32_e32 v39, v39, v35
	v_fma_f32 v43, v42, s6, -v43
	v_add_f32_e32 v46, v46, v35
	v_fmac_f32_e32 v48, 0x3f3d2fb0, v42
	v_add_f32_e32 v45, v45, v35
	v_fma_f32 v47, v42, s7, -v47
	;; [unrolled: 4-line block ×8, first 2 shown]
	v_add_f32_e32 v44, v44, v36
	v_add_f32_e32 v43, v43, v36
	;; [unrolled: 1-line block ×18, first 2 shown]
	v_sub_f32_e32 v29, v29, v31
	v_sub_f32_e32 v30, v30, v32
	v_mul_f32_e32 v31, 0x3f3d2fb0, v36
	v_mov_b32_e32 v32, v31
	v_fmac_f32_e32 v31, 0xbf2c7751, v30
	v_add_f32_e32 v31, v31, v39
	v_mul_f32_e32 v39, 0x3dbcf732, v36
	v_fmac_f32_e32 v32, 0x3f2c7751, v30
	v_mul_f32_e32 v38, 0xbf2c7751, v29
	v_mov_b32_e32 v42, v39
	v_fmac_f32_e32 v39, 0xbf7ee86f, v30
	v_add_f32_e32 v32, v32, v40
	v_mov_b32_e32 v40, v38
	v_fma_f32 v38, v37, s7, -v38
	v_fmac_f32_e32 v42, 0x3f7ee86f, v30
	v_add_f32_e32 v39, v39, v45
	v_mul_f32_e32 v45, 0xbf1a4643, v36
	v_fmac_f32_e32 v40, 0x3f3d2fb0, v37
	v_add_f32_e32 v38, v38, v43
	v_add_f32_e32 v42, v42, v46
	v_mul_f32_e32 v43, 0xbf7ee86f, v29
	v_mov_b32_e32 v46, v45
	v_fmac_f32_e32 v45, 0xbf4c4adb, v30
	v_add_f32_e32 v40, v40, v44
	v_mov_b32_e32 v44, v43
	v_fma_f32 v43, v37, s11, -v43
	v_fmac_f32_e32 v46, 0x3f4c4adb, v30
	v_add_f32_e32 v45, v45, v49
	v_mul_f32_e32 v49, 0xbf7ba420, v36
	v_fmac_f32_e32 v44, 0x3dbcf732, v37
	v_add_f32_e32 v43, v43, v47
	v_add_f32_e32 v46, v46, v50
	;; [unrolled: 12-line block ×5, first 2 shown]
	v_mul_f32_e32 v59, 0x3f763a35, v29
	v_mov_b32_e32 v62, v61
	v_fmac_f32_e32 v61, 0x3f65296c, v30
	v_mul_f32_e32 v36, 0x3f6eb680, v36
	v_add_f32_e32 v56, v56, v60
	v_mov_b32_e32 v60, v59
	v_fma_f32 v59, v37, s12, -v59
	v_add_f32_e32 v61, v61, v65
	v_mov_b32_e32 v65, v36
	v_fmac_f32_e32 v36, 0x3eb8f4ab, v30
	v_add_f32_e32 v59, v59, v63
	v_fmac_f32_e32 v62, 0xbf65296c, v30
	v_mul_f32_e32 v63, 0x3f65296c, v29
	v_fmac_f32_e32 v65, 0xbeb8f4ab, v30
	v_mul_f32_e32 v29, 0x3eb8f4ab, v29
	v_add_f32_e32 v30, v36, v34
	v_add_f32_e32 v34, v25, v27
	;; [unrolled: 1-line block ×3, first 2 shown]
	v_mov_b32_e32 v66, v29
	v_fma_f32 v29, v37, s6, -v29
	v_sub_f32_e32 v25, v25, v27
	v_mul_f32_e32 v27, 0x3ee437d1, v34
	v_add_f32_e32 v29, v29, v35
	v_add_f32_e32 v35, v26, v28
	v_sub_f32_e32 v26, v26, v28
	v_mov_b32_e32 v28, v27
	v_fmac_f32_e32 v28, 0x3f65296c, v26
	v_add_f32_e32 v28, v28, v32
	v_mul_f32_e32 v32, 0xbf65296c, v25
	v_fmac_f32_e32 v27, 0xbf65296c, v26
	v_fmac_f32_e32 v60, 0xbe8c1d8e, v37
	v_add_f32_e32 v31, v27, v31
	v_fma_f32 v27, v35, s10, -v32
	v_add_f32_e32 v60, v60, v64
	v_mov_b32_e32 v64, v63
	v_mov_b32_e32 v36, v32
	v_add_f32_e32 v32, v27, v38
	v_mul_f32_e32 v27, 0xbf1a4643, v34
	v_fmac_f32_e32 v64, 0x3ee437d1, v37
	v_fma_f32 v63, v37, s10, -v63
	v_fmac_f32_e32 v66, 0x3f6eb680, v37
	v_mov_b32_e32 v37, v27
	v_mul_f32_e32 v38, 0xbf4c4adb, v25
	v_fmac_f32_e32 v27, 0xbf4c4adb, v26
	v_fmac_f32_e32 v36, 0x3ee437d1, v35
	v_add_f32_e32 v39, v27, v39
	v_fma_f32 v27, v35, s13, -v38
	v_add_f32_e32 v36, v36, v40
	v_fmac_f32_e32 v37, 0x3f4c4adb, v26
	v_mov_b32_e32 v40, v38
	v_add_f32_e32 v38, v27, v43
	v_mul_f32_e32 v27, 0xbf7ba420, v34
	v_add_f32_e32 v37, v37, v42
	v_mov_b32_e32 v42, v27
	v_mul_f32_e32 v43, 0x3e3c28d5, v25
	v_fmac_f32_e32 v27, 0x3e3c28d5, v26
	v_fmac_f32_e32 v40, 0xbf1a4643, v35
	v_add_f32_e32 v45, v27, v45
	v_fma_f32 v27, v35, s17, -v43
	v_add_f32_e32 v40, v40, v44
	v_fmac_f32_e32 v42, 0xbe3c28d5, v26
	v_mov_b32_e32 v44, v43
	v_add_f32_e32 v43, v27, v47
	v_mul_f32_e32 v27, 0xbe8c1d8e, v34
	v_add_f32_e32 v42, v42, v46
	;; [unrolled: 12-line block ×5, first 2 shown]
	v_mov_b32_e32 v58, v27
	v_mul_f32_e32 v59, 0xbf7ee86f, v25
	v_fmac_f32_e32 v27, 0xbf7ee86f, v26
	v_add_f32_e32 v63, v63, v67
	v_fmac_f32_e32 v56, 0x3f6eb680, v35
	v_add_f32_e32 v61, v27, v61
	v_fma_f32 v27, v35, s11, -v59
	v_add_f32_e32 v56, v56, v60
	v_mov_b32_e32 v60, v59
	v_add_f32_e32 v59, v27, v63
	v_mul_f32_e32 v27, 0xbf59a7d5, v34
	v_mov_b32_e32 v34, v27
	v_add_f32_e32 v65, v65, v69
	v_fmac_f32_e32 v58, 0x3f7ee86f, v26
	v_fmac_f32_e32 v34, 0x3f06c442, v26
	v_mul_f32_e32 v25, 0xbf06c442, v25
	v_add_f32_e32 v64, v64, v68
	v_add_f32_e32 v58, v58, v62
	v_fmac_f32_e32 v60, 0x3dbcf732, v35
	v_add_f32_e32 v62, v34, v65
	v_mov_b32_e32 v34, v25
	v_fma_f32 v25, v35, s16, -v25
	v_add_f32_e32 v66, v66, v70
	v_add_f32_e32 v60, v60, v64
	v_fmac_f32_e32 v34, 0xbf59a7d5, v35
	v_add_f32_e32 v64, v25, v29
	v_add_f32_e32 v25, v21, v23
	;; [unrolled: 1-line block ×3, first 2 shown]
	v_sub_f32_e32 v66, v21, v23
	v_mul_f32_e32 v21, 0x3dbcf732, v25
	v_add_f32_e32 v65, v22, v24
	v_sub_f32_e32 v67, v22, v24
	v_mov_b32_e32 v22, v21
	v_fmac_f32_e32 v27, 0xbf06c442, v26
	v_fmac_f32_e32 v22, 0x3f7ee86f, v67
	v_add_f32_e32 v26, v27, v30
	v_add_f32_e32 v27, v22, v28
	v_mul_f32_e32 v22, 0xbf7ee86f, v66
	v_fmac_f32_e32 v21, 0xbf7ee86f, v67
	v_add_f32_e32 v29, v21, v31
	v_fma_f32 v21, v65, s11, -v22
	v_add_f32_e32 v30, v21, v32
	v_mul_f32_e32 v21, 0xbf7ba420, v25
	v_mov_b32_e32 v23, v22
	v_mov_b32_e32 v22, v21
	v_fmac_f32_e32 v22, 0x3e3c28d5, v67
	v_add_f32_e32 v31, v22, v37
	v_mul_f32_e32 v22, 0xbe3c28d5, v66
	v_fmac_f32_e32 v21, 0xbe3c28d5, v67
	v_add_f32_e32 v34, v21, v39
	v_fma_f32 v21, v65, s17, -v22
	v_fmac_f32_e32 v23, 0x3dbcf732, v65
	v_add_f32_e32 v35, v21, v38
	v_mul_f32_e32 v21, 0xbe8c1d8e, v25
	v_add_f32_e32 v28, v23, v36
	v_mov_b32_e32 v23, v22
	v_mov_b32_e32 v22, v21
	v_fmac_f32_e32 v22, 0xbf763a35, v67
	v_add_f32_e32 v36, v22, v42
	v_mul_f32_e32 v22, 0x3f763a35, v66
	v_fmac_f32_e32 v21, 0x3f763a35, v67
	v_add_f32_e32 v38, v21, v45
	v_fma_f32 v21, v65, s12, -v22
	v_fmac_f32_e32 v23, 0xbf7ba420, v65
	v_add_f32_e32 v39, v21, v43
	v_mul_f32_e32 v21, 0x3f6eb680, v25
	v_add_f32_e32 v32, v23, v40
	v_mov_b32_e32 v23, v22
	v_mov_b32_e32 v22, v21
	v_fmac_f32_e32 v22, 0xbeb8f4ab, v67
	v_add_f32_e32 v40, v22, v46
	v_mul_f32_e32 v22, 0x3eb8f4ab, v66
	v_fmac_f32_e32 v21, 0x3eb8f4ab, v67
	v_fmac_f32_e32 v23, 0xbe8c1d8e, v65
	v_add_f32_e32 v43, v21, v49
	v_fma_f32 v21, v65, s6, -v22
	v_add_f32_e32 v37, v23, v44
	v_add_f32_e32 v44, v21, v47
	v_mul_f32_e32 v21, 0x3ee437d1, v25
	v_mov_b32_e32 v23, v22
	v_mov_b32_e32 v22, v21
	v_fmac_f32_e32 v22, 0x3f65296c, v67
	v_add_f32_e32 v45, v22, v50
	v_mul_f32_e32 v22, 0xbf65296c, v66
	v_fmac_f32_e32 v21, 0xbf65296c, v67
	v_fmac_f32_e32 v23, 0x3f6eb680, v65
	v_add_f32_e32 v47, v21, v53
	v_fma_f32 v21, v65, s10, -v22
	v_add_f32_e32 v42, v23, v48
	v_add_f32_e32 v48, v21, v51
	v_mul_f32_e32 v21, 0xbf59a7d5, v25
	;; [unrolled: 12-line block ×3, first 2 shown]
	v_mov_b32_e32 v23, v22
	v_mov_b32_e32 v22, v21
	v_fmac_f32_e32 v22, 0xbf4c4adb, v67
	v_fmac_f32_e32 v23, 0xbf59a7d5, v65
	v_add_f32_e32 v53, v22, v58
	v_mul_f32_e32 v22, 0x3f4c4adb, v66
	v_add_f32_e32 v50, v23, v56
	v_mov_b32_e32 v23, v22
	v_fmac_f32_e32 v23, 0xbf1a4643, v65
	v_mul_f32_e32 v25, 0x3f3d2fb0, v25
	v_add_f32_e32 v54, v23, v60
	v_mov_b32_e32 v23, v25
	v_mul_f32_e32 v55, 0x3f2c7751, v66
	v_fmac_f32_e32 v25, 0x3f2c7751, v67
	v_mov_b32_e32 v24, v55
	v_add_f32_e32 v25, v25, v26
	v_fma_f32 v26, v65, s7, -v55
	v_add_f32_e32 v55, v17, v19
	v_sub_f32_e32 v17, v17, v19
	v_mul_f32_e32 v19, 0xbe8c1d8e, v55
	v_add_f32_e32 v56, v18, v20
	v_sub_f32_e32 v18, v18, v20
	v_mov_b32_e32 v20, v19
	v_fmac_f32_e32 v20, 0x3f763a35, v18
	v_add_f32_e32 v20, v20, v27
	v_mul_f32_e32 v27, 0xbf763a35, v17
	v_fmac_f32_e32 v19, 0xbf763a35, v18
	v_mov_b32_e32 v57, v27
	v_add_f32_e32 v19, v19, v29
	v_fma_f32 v27, v56, s12, -v27
	v_mul_f32_e32 v29, 0xbf59a7d5, v55
	v_add_f32_e32 v27, v27, v30
	v_mov_b32_e32 v30, v29
	v_fmac_f32_e32 v30, 0xbf06c442, v18
	v_fmac_f32_e32 v57, 0xbe8c1d8e, v56
	v_add_f32_e32 v30, v30, v31
	v_mul_f32_e32 v31, 0x3f06c442, v17
	v_fmac_f32_e32 v29, 0x3f06c442, v18
	v_add_f32_e32 v28, v57, v28
	v_mov_b32_e32 v57, v31
	v_add_f32_e32 v29, v29, v34
	v_fma_f32 v31, v56, s16, -v31
	v_mul_f32_e32 v34, 0x3f3d2fb0, v55
	v_add_f32_e32 v31, v31, v35
	v_mov_b32_e32 v35, v34
	v_fmac_f32_e32 v35, 0xbf2c7751, v18
	v_fmac_f32_e32 v57, 0xbf59a7d5, v56
	v_add_f32_e32 v35, v35, v36
	v_mul_f32_e32 v36, 0x3f2c7751, v17
	v_add_f32_e32 v32, v57, v32
	v_mov_b32_e32 v57, v36
	v_fma_f32 v36, v56, s7, -v36
	v_fmac_f32_e32 v57, 0x3f3d2fb0, v56
	v_add_f32_e32 v58, v36, v39
	v_mul_f32_e32 v36, 0x3ee437d1, v55
	v_add_f32_e32 v57, v57, v37
	v_mov_b32_e32 v37, v36
	v_fma_f32 v22, v65, s13, -v22
	v_fmac_f32_e32 v37, 0x3f65296c, v18
	v_fmac_f32_e32 v21, 0x3f4c4adb, v67
	v_add_f32_e32 v22, v22, v59
	v_add_f32_e32 v59, v37, v40
	v_mul_f32_e32 v37, 0xbf65296c, v17
	v_fmac_f32_e32 v36, 0xbf65296c, v18
	v_add_f32_e32 v21, v21, v61
	v_fmac_f32_e32 v23, 0xbf2c7751, v67
	v_add_f32_e32 v61, v36, v43
	v_fma_f32 v36, v56, s10, -v37
	v_add_f32_e32 v23, v23, v62
	v_fmac_f32_e32 v34, 0x3f2c7751, v18
	v_add_f32_e32 v62, v36, v44
	v_mul_f32_e32 v36, 0xbf7ba420, v55
	v_add_f32_e32 v34, v34, v38
	v_mov_b32_e32 v38, v37
	v_mov_b32_e32 v37, v36
	v_fmac_f32_e32 v24, 0x3f3d2fb0, v65
	v_fmac_f32_e32 v37, 0x3e3c28d5, v18
	v_add_f32_e32 v24, v24, v63
	v_add_f32_e32 v63, v37, v45
	v_mul_f32_e32 v37, 0xbe3c28d5, v17
	v_fmac_f32_e32 v36, 0xbe3c28d5, v18
	v_add_f32_e32 v47, v36, v47
	v_fma_f32 v36, v56, s17, -v37
	v_fmac_f32_e32 v38, 0x3ee437d1, v56
	v_add_f32_e32 v48, v36, v48
	v_mul_f32_e32 v36, 0x3dbcf732, v55
	v_add_f32_e32 v60, v38, v42
	v_mov_b32_e32 v38, v37
	v_mov_b32_e32 v37, v36
	v_fmac_f32_e32 v37, 0xbf7ee86f, v18
	v_add_f32_e32 v49, v37, v49
	v_mul_f32_e32 v37, 0x3f7ee86f, v17
	v_fmac_f32_e32 v36, 0x3f7ee86f, v18
	v_add_f32_e32 v51, v36, v51
	v_fma_f32 v36, v56, s11, -v37
	v_fmac_f32_e32 v38, 0xbf7ba420, v56
	v_add_f32_e32 v52, v36, v52
	v_mul_f32_e32 v36, 0x3f6eb680, v55
	v_add_f32_e32 v26, v26, v64
	v_add_f32_e32 v64, v38, v46
	v_mov_b32_e32 v38, v37
	v_mov_b32_e32 v37, v36
	v_fmac_f32_e32 v37, 0x3eb8f4ab, v18
	v_add_f32_e32 v53, v37, v53
	v_mul_f32_e32 v37, 0xbeb8f4ab, v17
	v_fmac_f32_e32 v36, 0xbeb8f4ab, v18
	v_add_f32_e32 v65, v36, v21
	v_fma_f32 v21, v56, s6, -v37
	v_add_f32_e32 v66, v21, v22
	v_mul_f32_e32 v21, 0xbf1a4643, v55
	v_mov_b32_e32 v22, v21
	v_fmac_f32_e32 v38, 0x3dbcf732, v56
	v_fmac_f32_e32 v22, 0x3f4c4adb, v18
	v_mul_f32_e32 v17, 0xbf4c4adb, v17
	v_add_f32_e32 v50, v38, v50
	v_mov_b32_e32 v38, v37
	v_add_f32_e32 v55, v22, v23
	v_mov_b32_e32 v22, v17
	v_fma_f32 v17, v56, s13, -v17
	v_fmac_f32_e32 v38, 0x3f6eb680, v56
	v_fmac_f32_e32 v22, 0xbf1a4643, v56
	v_add_f32_e32 v56, v17, v26
	v_add_f32_e32 v17, v13, v15
	v_sub_f32_e32 v13, v13, v15
	v_mul_f32_e32 v15, 0xbf1a4643, v17
	v_add_f32_e32 v69, v14, v16
	v_sub_f32_e32 v14, v14, v16
	v_mov_b32_e32 v16, v15
	v_fmac_f32_e32 v16, 0x3f4c4adb, v14
	v_add_f32_e32 v45, v16, v20
	v_mul_f32_e32 v16, 0xbf4c4adb, v13
	v_fmac_f32_e32 v15, 0xbf4c4adb, v14
	v_add_f32_e32 v40, v15, v19
	v_fma_f32 v15, v69, s13, -v16
	v_add_f32_e32 v42, v15, v27
	v_mul_f32_e32 v15, 0xbe8c1d8e, v17
	v_fmac_f32_e32 v21, 0xbf4c4adb, v18
	v_mov_b32_e32 v18, v16
	v_mov_b32_e32 v16, v15
	v_fmac_f32_e32 v16, 0xbf763a35, v14
	v_add_f32_e32 v43, v16, v30
	v_mul_f32_e32 v16, 0x3f763a35, v13
	v_fmac_f32_e32 v15, 0x3f763a35, v14
	v_add_f32_e32 v36, v15, v29
	v_fma_f32 v15, v69, s12, -v16
	v_fmac_f32_e32 v18, 0xbf1a4643, v69
	v_add_f32_e32 v37, v15, v31
	v_mul_f32_e32 v15, 0x3f6eb680, v17
	v_add_f32_e32 v46, v18, v28
	v_mov_b32_e32 v18, v16
	v_mov_b32_e32 v16, v15
	v_fmac_f32_e32 v16, 0x3eb8f4ab, v14
	v_add_f32_e32 v54, v38, v54
	v_add_f32_e32 v38, v16, v35
	v_mul_f32_e32 v16, 0xbeb8f4ab, v13
	v_fmac_f32_e32 v15, 0xbeb8f4ab, v14
	v_fmac_f32_e32 v18, 0xbe8c1d8e, v69
	v_add_f32_e32 v31, v15, v34
	v_fma_f32 v15, v69, s6, -v16
	v_add_f32_e32 v44, v18, v32
	v_add_f32_e32 v32, v15, v58
	v_mul_f32_e32 v15, 0xbf59a7d5, v17
	v_mov_b32_e32 v18, v16
	v_mov_b32_e32 v16, v15
	v_fmac_f32_e32 v16, 0x3f06c442, v14
	v_add_f32_e32 v34, v16, v59
	v_mul_f32_e32 v16, 0xbf06c442, v13
	v_fmac_f32_e32 v15, 0xbf06c442, v14
	v_add_f32_e32 v27, v15, v61
	v_fma_f32 v15, v69, s16, -v16
	v_fmac_f32_e32 v18, 0x3f6eb680, v69
	v_add_f32_e32 v28, v15, v62
	v_mul_f32_e32 v15, 0x3dbcf732, v17
	v_add_f32_e32 v39, v18, v57
	v_mov_b32_e32 v18, v16
	v_mov_b32_e32 v16, v15
	v_fmac_f32_e32 v16, 0xbf7ee86f, v14
	v_add_f32_e32 v29, v16, v63
	v_mul_f32_e32 v16, 0x3f7ee86f, v13
	v_fmac_f32_e32 v15, 0x3f7ee86f, v14
	v_add_f32_e32 v23, v15, v47
	v_fma_f32 v15, v69, s11, -v16
	v_add_f32_e32 v67, v22, v24
	v_fmac_f32_e32 v18, 0xbf59a7d5, v69
	v_add_f32_e32 v24, v15, v48
	v_mul_f32_e32 v15, 0x3f3d2fb0, v17
	v_add_f32_e32 v35, v18, v60
	v_mov_b32_e32 v18, v16
	v_mov_b32_e32 v16, v15
	v_fmac_f32_e32 v16, 0x3f2c7751, v14
	v_add_f32_e32 v68, v21, v25
	v_add_f32_e32 v25, v16, v49
	v_mul_f32_e32 v16, 0xbf2c7751, v13
	v_fmac_f32_e32 v15, 0xbf2c7751, v14
	v_add_f32_e32 v19, v15, v51
	v_fma_f32 v15, v69, s7, -v16
	v_fmac_f32_e32 v18, 0x3dbcf732, v69
	v_add_f32_e32 v20, v15, v52
	v_mul_f32_e32 v15, 0xbf7ba420, v17
	v_add_f32_e32 v30, v18, v64
	v_mov_b32_e32 v18, v16
	v_mov_b32_e32 v16, v15
	v_fmac_f32_e32 v16, 0x3e3c28d5, v14
	v_fmac_f32_e32 v18, 0x3f3d2fb0, v69
	v_add_f32_e32 v21, v16, v53
	v_mul_f32_e32 v16, 0xbe3c28d5, v13
	v_add_f32_e32 v26, v18, v50
	v_mov_b32_e32 v18, v16
	v_fmac_f32_e32 v18, 0xbf7ba420, v69
	v_fmac_f32_e32 v15, 0xbe3c28d5, v14
	v_mul_f32_e32 v47, 0x3ee437d1, v17
	v_mul_f32_e32 v48, 0x3f65296c, v13
	v_add_f32_e32 v22, v18, v54
	v_add_f32_e32 v18, v15, v65
	v_fma_f32 v15, v69, s17, -v16
	v_mov_b32_e32 v16, v47
	v_mov_b32_e32 v13, v48
	v_fmac_f32_e32 v16, 0xbf65296c, v14
	v_fmac_f32_e32 v13, 0x3ee437d1, v69
	;; [unrolled: 1-line block ×3, first 2 shown]
	v_fma_f32 v14, v69, s10, -v48
	v_add_f32_e32 v48, v9, v11
	v_add_f32_e32 v17, v13, v67
	v_add_f32_e32 v13, v47, v68
	v_add_f32_e32 v47, v10, v12
	v_sub_f32_e32 v11, v9, v11
	v_sub_f32_e32 v9, v10, v12
	v_mul_f32_e32 v10, 0xbf59a7d5, v48
	v_mov_b32_e32 v12, v10
	v_fmac_f32_e32 v12, 0x3f06c442, v9
	v_add_f32_e32 v12, v12, v45
	v_mul_f32_e32 v45, 0xbf06c442, v11
	v_fmac_f32_e32 v10, 0xbf06c442, v9
	v_add_f32_e32 v10, v10, v40
	v_fma_f32 v40, v47, s16, -v45
	v_add_f32_e32 v40, v40, v42
	v_mul_f32_e32 v42, 0x3ee437d1, v48
	v_mov_b32_e32 v49, v45
	v_mov_b32_e32 v45, v42
	v_fmac_f32_e32 v45, 0xbf65296c, v9
	v_add_f32_e32 v43, v45, v43
	v_mul_f32_e32 v45, 0x3f65296c, v11
	v_fmac_f32_e32 v42, 0x3f65296c, v9
	v_add_f32_e32 v36, v42, v36
	v_fma_f32 v42, v47, s10, -v45
	v_fmac_f32_e32 v49, 0xbf59a7d5, v47
	v_add_f32_e32 v37, v42, v37
	v_mul_f32_e32 v42, 0x3dbcf732, v48
	v_add_f32_e32 v46, v49, v46
	v_mov_b32_e32 v49, v45
	v_mov_b32_e32 v45, v42
	v_fmac_f32_e32 v45, 0x3f7ee86f, v9
	v_add_f32_e32 v38, v45, v38
	v_mul_f32_e32 v45, 0xbf7ee86f, v11
	v_fmac_f32_e32 v42, 0xbf7ee86f, v9
	v_add_f32_e32 v31, v42, v31
	v_fma_f32 v42, v47, s11, -v45
	v_fmac_f32_e32 v49, 0x3ee437d1, v47
	v_add_f32_e32 v32, v42, v32
	v_mul_f32_e32 v42, 0xbf1a4643, v48
	v_add_f32_e32 v44, v49, v44
	v_mov_b32_e32 v49, v45
	v_mov_b32_e32 v45, v42
	v_fmac_f32_e32 v45, 0xbf4c4adb, v9
	v_add_f32_e32 v34, v45, v34
	v_mul_f32_e32 v45, 0x3f4c4adb, v11
	v_fmac_f32_e32 v42, 0x3f4c4adb, v9
	v_add_f32_e32 v27, v42, v27
	v_fma_f32 v42, v47, s13, -v45
	v_fmac_f32_e32 v49, 0x3dbcf732, v47
	v_add_f32_e32 v28, v42, v28
	v_mul_f32_e32 v42, 0x3f6eb680, v48
	v_add_f32_e32 v39, v49, v39
	v_mov_b32_e32 v49, v45
	v_mov_b32_e32 v45, v42
	v_fmac_f32_e32 v45, 0x3eb8f4ab, v9
	v_add_f32_e32 v29, v45, v29
	v_mul_f32_e32 v45, 0xbeb8f4ab, v11
	v_fmac_f32_e32 v42, 0xbeb8f4ab, v9
	v_add_f32_e32 v23, v42, v23
	v_fma_f32 v42, v47, s6, -v45
	v_fmac_f32_e32 v49, 0xbf1a4643, v47
	v_add_f32_e32 v24, v42, v24
	v_mul_f32_e32 v42, 0xbf7ba420, v48
	v_add_f32_e32 v35, v49, v35
	v_mov_b32_e32 v49, v45
	v_mov_b32_e32 v45, v42
	v_fmac_f32_e32 v45, 0x3e3c28d5, v9
	v_add_f32_e32 v25, v45, v25
	v_mul_f32_e32 v45, 0xbe3c28d5, v11
	v_fmac_f32_e32 v42, 0xbe3c28d5, v9
	v_add_f32_e32 v19, v42, v19
	v_fma_f32 v42, v47, s17, -v45
	v_fmac_f32_e32 v49, 0x3f6eb680, v47
	v_add_f32_e32 v20, v42, v20
	v_mul_f32_e32 v42, 0x3f3d2fb0, v48
	v_add_f32_e32 v30, v49, v30
	v_mov_b32_e32 v49, v45
	v_mov_b32_e32 v45, v42
	v_fmac_f32_e32 v45, 0xbf2c7751, v9
	v_add_f32_e32 v21, v45, v21
	v_mul_f32_e32 v45, 0x3f2c7751, v11
	v_fmac_f32_e32 v42, 0x3f2c7751, v9
	v_add_f32_e32 v15, v15, v66
	v_add_f32_e32 v18, v42, v18
	v_fma_f32 v42, v47, s7, -v45
	v_fmac_f32_e32 v49, 0xbf7ba420, v47
	v_add_f32_e32 v15, v42, v15
	v_mul_f32_e32 v42, 0xbe8c1d8e, v48
	v_add_f32_e32 v26, v49, v26
	v_mov_b32_e32 v49, v45
	v_mov_b32_e32 v45, v42
	v_fmac_f32_e32 v42, 0xbf763a35, v9
	v_add_f32_e32 v16, v16, v55
	v_fmac_f32_e32 v45, 0x3f763a35, v9
	v_mul_f32_e32 v11, 0xbf763a35, v11
	v_add_f32_e32 v9, v42, v13
	v_add_f32_e32 v13, v5, v7
	;; [unrolled: 1-line block ×4, first 2 shown]
	v_mov_b32_e32 v45, v11
	v_fma_f32 v11, v47, s12, -v11
	v_sub_f32_e32 v5, v5, v7
	v_mul_f32_e32 v7, 0xbf7ba420, v13
	v_add_f32_e32 v11, v11, v14
	v_add_f32_e32 v14, v6, v8
	v_sub_f32_e32 v6, v6, v8
	v_mov_b32_e32 v8, v7
	v_fmac_f32_e32 v8, 0x3e3c28d5, v6
	v_add_f32_e32 v8, v8, v12
	v_mul_f32_e32 v12, 0xbe3c28d5, v5
	v_mov_b32_e32 v42, v12
	v_fmac_f32_e32 v7, 0xbe3c28d5, v6
	v_fmac_f32_e32 v45, 0xbe8c1d8e, v47
	;; [unrolled: 1-line block ×3, first 2 shown]
	v_add_f32_e32 v7, v7, v10
	v_fma_f32 v10, v14, s17, -v12
	v_mul_f32_e32 v12, 0x3f6eb680, v13
	v_add_f32_e32 v17, v45, v17
	v_add_f32_e32 v45, v42, v46
	;; [unrolled: 1-line block ×3, first 2 shown]
	v_mov_b32_e32 v40, v12
	v_mul_f32_e32 v42, 0x3eb8f4ab, v5
	v_fmac_f32_e32 v12, 0x3eb8f4ab, v6
	v_add_f32_e32 v12, v12, v36
	v_fma_f32 v36, v14, s6, -v42
	v_fmac_f32_e32 v40, 0xbeb8f4ab, v6
	v_add_f32_e32 v36, v36, v37
	v_mul_f32_e32 v37, 0xbf59a7d5, v13
	v_add_f32_e32 v40, v40, v43
	v_mov_b32_e32 v43, v42
	v_mov_b32_e32 v42, v37
	v_fmac_f32_e32 v42, 0x3f06c442, v6
	v_add_f32_e32 v38, v42, v38
	v_mul_f32_e32 v42, 0xbf06c442, v5
	v_fmac_f32_e32 v37, 0xbf06c442, v6
	v_add_f32_e32 v31, v37, v31
	v_fma_f32 v37, v14, s16, -v42
	v_fmac_f32_e32 v43, 0x3f6eb680, v14
	v_add_f32_e32 v37, v37, v32
	v_mul_f32_e32 v32, 0x3f3d2fb0, v13
	v_add_f32_e32 v44, v43, v44
	v_mov_b32_e32 v43, v42
	v_mov_b32_e32 v42, v32
	v_fmac_f32_e32 v42, 0xbf2c7751, v6
	v_add_f32_e32 v34, v42, v34
	v_mul_f32_e32 v42, 0x3f2c7751, v5
	v_fmac_f32_e32 v32, 0x3f2c7751, v6
	v_add_f32_e32 v27, v32, v27
	v_fma_f32 v32, v14, s7, -v42
	v_add_f32_e32 v48, v32, v28
	v_mul_f32_e32 v28, 0xbf1a4643, v13
	v_mov_b32_e32 v32, v28
	v_fmac_f32_e32 v32, 0x3f4c4adb, v6
	v_fmac_f32_e32 v43, 0xbf59a7d5, v14
	v_add_f32_e32 v29, v32, v29
	v_mul_f32_e32 v32, 0xbf4c4adb, v5
	v_fmac_f32_e32 v28, 0xbf4c4adb, v6
	v_add_f32_e32 v39, v43, v39
	v_mov_b32_e32 v43, v42
	v_mov_b32_e32 v42, v32
	v_add_f32_e32 v23, v28, v23
	v_fma_f32 v28, v14, s13, -v32
	v_fmac_f32_e32 v49, 0x3f3d2fb0, v47
	v_fmac_f32_e32 v42, 0xbf1a4643, v14
	v_add_f32_e32 v24, v28, v24
	v_mul_f32_e32 v28, 0x3ee437d1, v13
	v_add_f32_e32 v22, v49, v22
	v_add_f32_e32 v49, v42, v30
	v_mov_b32_e32 v30, v28
	v_fmac_f32_e32 v30, 0xbf65296c, v6
	v_add_f32_e32 v25, v30, v25
	v_mul_f32_e32 v30, 0x3f65296c, v5
	v_fmac_f32_e32 v28, 0x3f65296c, v6
	v_add_f32_e32 v19, v28, v19
	v_fma_f32 v28, v14, s10, -v30
	v_add_f32_e32 v50, v28, v20
	v_mul_f32_e32 v20, 0xbe8c1d8e, v13
	v_mov_b32_e32 v28, v20
	v_fmac_f32_e32 v28, 0x3f763a35, v6
	v_add_f32_e32 v21, v28, v21
	v_mul_f32_e32 v28, 0xbf763a35, v5
	v_fmac_f32_e32 v20, 0xbf763a35, v6
	v_add_f32_e32 v18, v20, v18
	v_fma_f32 v20, v14, s12, -v28
	v_mul_f32_e32 v13, 0x3dbcf732, v13
	v_add_f32_e32 v15, v20, v15
	v_mov_b32_e32 v20, v13
	v_fmac_f32_e32 v13, 0x3f7ee86f, v6
	s_movk_i32 s4, 0x44
	v_mov_b32_e32 v32, v30
	v_mov_b32_e32 v30, v28
	v_fmac_f32_e32 v20, 0xbf7ee86f, v6
	v_mul_f32_e32 v5, 0x3f7ee86f, v5
	v_add_f32_e32 v6, v13, v9
	v_mad_u32_u24 v9, v41, s4, 0
	s_load_dwordx2 s[2:3], s[2:3], 0x0
	v_fmac_f32_e32 v30, 0xbe8c1d8e, v14
	v_add_f32_e32 v16, v20, v16
	v_mov_b32_e32 v20, v5
	ds_write2_b32 v9, v33, v8 offset1:1
	ds_write2_b32 v9, v40, v38 offset0:2 offset1:3
	ds_write2_b32 v9, v34, v29 offset0:4 offset1:5
	;; [unrolled: 1-line block ×7, first 2 shown]
	ds_write_b32 v9, v7 offset:64
	v_lshlrev_b32_e32 v6, 6, v41
	v_add_f32_e32 v51, v30, v22
	v_fmac_f32_e32 v20, 0x3dbcf732, v14
	v_sub_u32_e32 v30, v9, v6
	v_fmac_f32_e32 v43, 0x3f3d2fb0, v14
	v_fmac_f32_e32 v32, 0x3ee437d1, v14
	v_add_f32_e32 v52, v20, v17
	v_fma_f32 v5, v14, s11, -v5
	v_add_u32_e32 v19, 0x200, v30
	v_add_u32_e32 v20, 0x400, v30
	;; [unrolled: 1-line block ×7, first 2 shown]
	s_movk_i32 s4, 0xf1
	v_add_f32_e32 v35, v43, v35
	v_add_f32_e32 v26, v32, v26
	;; [unrolled: 1-line block ×3, first 2 shown]
	s_waitcnt lgkmcnt(0)
	s_barrier
	ds_read2_b32 v[17:18], v30 offset1:102
	ds_read2_b32 v[28:29], v19 offset0:76 offset1:178
	ds_read2_b32 v[31:32], v20 offset0:152 offset1:254
	;; [unrolled: 1-line block ×7, first 2 shown]
	ds_read_b32 v88, v30 offset:6528
	s_waitcnt lgkmcnt(0)
	s_barrier
	ds_write2_b32 v9, v0, v45 offset1:1
	ds_write2_b32 v9, v44, v39 offset0:2 offset1:3
	ds_write2_b32 v9, v35, v49 offset0:4 offset1:5
	;; [unrolled: 1-line block ×7, first 2 shown]
	ds_write_b32 v9, v10 offset:64
	v_mul_lo_u16_sdwa v0, v41, s4 dst_sel:DWORD dst_unused:UNUSED_PAD src0_sel:BYTE_0 src1_sel:DWORD
	v_lshrrev_b16_e32 v8, 12, v0
	v_mul_lo_u16_e32 v0, 17, v8
	v_sub_u16_e32 v7, v41, v0
	v_mov_b32_e32 v0, 7
	v_lshlrev_b32_sdwa v0, v0, v7 dst_sel:DWORD dst_unused:UNUSED_PAD src0_sel:DWORD src1_sel:BYTE_0
	s_waitcnt lgkmcnt(0)
	s_barrier
	global_load_dwordx4 v[9:12], v0, s[8:9]
	global_load_dwordx4 v[13:16], v0, s[8:9] offset:16
	global_load_dwordx4 v[24:27], v0, s[8:9] offset:32
	;; [unrolled: 1-line block ×7, first 2 shown]
	ds_read2_b32 v[5:6], v30 offset1:102
	ds_read2_b32 v[33:34], v19 offset0:76 offset1:178
	ds_read2_b32 v[76:77], v20 offset0:152 offset1:254
	;; [unrolled: 1-line block ×7, first 2 shown]
	ds_read_b32 v89, v30 offset:6528
	v_mul_u32_u24_e32 v8, 0x484, v8
	s_waitcnt vmcnt(0) lgkmcnt(0)
	s_barrier
	s_movk_i32 s4, 0x55
	v_cmp_gt_u32_e32 vcc, s4, v41
	v_mul_f32_e32 v0, v6, v10
	v_fma_f32 v48, v18, v9, -v0
	v_mul_f32_e32 v0, v33, v12
	v_fma_f32 v44, v28, v11, -v0
	v_mul_f32_e32 v0, v34, v14
	v_mul_f32_e32 v49, v18, v10
	v_fma_f32 v39, v29, v13, -v0
	v_mul_f32_e32 v0, v76, v16
	v_fmac_f32_e32 v49, v6, v9
	v_mul_f32_e32 v45, v28, v12
	v_fma_f32 v35, v31, v15, -v0
	v_mul_f32_e32 v0, v77, v25
	v_mul_f32_e32 v6, v81, v55
	v_fmac_f32_e32 v45, v33, v11
	v_mul_f32_e32 v40, v29, v14
	v_fma_f32 v33, v32, v24, -v0
	v_mul_f32_e32 v0, v78, v27
	v_mul_f32_e32 v29, v42, v27
	v_fma_f32 v19, v47, v54, -v6
	v_mul_f32_e32 v6, v82, v57
	v_fma_f32 v28, v42, v26, -v0
	v_fmac_f32_e32 v29, v78, v26
	v_fma_f32 v26, v70, v56, -v6
	v_mul_f32_e32 v6, v83, v59
	v_mul_f32_e32 v37, v31, v16
	v_fma_f32 v31, v71, v58, -v6
	v_mul_f32_e32 v6, v84, v61
	v_fmac_f32_e32 v40, v34, v13
	v_mul_f32_e32 v34, v32, v25
	v_mul_f32_e32 v0, v79, v51
	v_fma_f32 v36, v72, v60, -v6
	v_mul_f32_e32 v6, v85, v63
	v_fmac_f32_e32 v34, v77, v24
	v_fma_f32 v24, v43, v50, -v0
	v_mul_f32_e32 v0, v80, v53
	v_mul_f32_e32 v32, v71, v59
	v_fma_f32 v42, v73, v62, -v6
	v_mul_f32_e32 v6, v86, v65
	v_fma_f32 v0, v46, v52, -v0
	v_mul_f32_e32 v18, v46, v53
	v_fmac_f32_e32 v32, v83, v58
	v_fma_f32 v46, v74, v64, -v6
	v_mul_f32_e32 v6, v87, v67
	v_mul_f32_e32 v58, v88, v69
	;; [unrolled: 1-line block ×3, first 2 shown]
	v_fma_f32 v51, v75, v66, -v6
	v_mul_f32_e32 v6, v89, v69
	v_fmac_f32_e32 v58, v89, v68
	v_mul_f32_e32 v21, v47, v55
	v_mul_f32_e32 v27, v70, v57
	;; [unrolled: 1-line block ×3, first 2 shown]
	v_fma_f32 v57, v88, v68, -v6
	v_sub_f32_e32 v10, v49, v58
	v_fmac_f32_e32 v37, v76, v15
	v_fmac_f32_e32 v25, v79, v50
	;; [unrolled: 1-line block ×6, first 2 shown]
	v_mul_f32_e32 v43, v73, v63
	v_mul_f32_e32 v52, v75, v67
	v_add_f32_e32 v9, v48, v57
	v_mul_f32_e32 v11, 0xbeb8f4ab, v10
	v_mul_f32_e32 v13, 0xbf2c7751, v10
	;; [unrolled: 1-line block ×8, first 2 shown]
	v_fmac_f32_e32 v43, v85, v62
	v_fmac_f32_e32 v52, v87, v66
	v_fma_f32 v12, v9, s6, -v11
	v_fmac_f32_e32 v11, 0x3f6eb680, v9
	v_fma_f32 v14, v9, s7, -v13
	v_fmac_f32_e32 v13, 0x3f3d2fb0, v9
	v_fma_f32 v16, v9, s10, -v15
	v_fmac_f32_e32 v15, 0x3ee437d1, v9
	v_fma_f32 v53, v9, s11, -v50
	v_fmac_f32_e32 v50, 0x3dbcf732, v9
	v_fma_f32 v55, v9, s12, -v54
	v_fmac_f32_e32 v54, 0xbe8c1d8e, v9
	v_fma_f32 v59, v9, s13, -v56
	v_fmac_f32_e32 v56, 0xbf1a4643, v9
	v_fma_f32 v61, v9, s16, -v60
	v_fmac_f32_e32 v60, 0xbf59a7d5, v9
	v_fma_f32 v62, v9, s17, -v10
	v_fmac_f32_e32 v10, 0xbf7ba420, v9
	v_add_f32_e32 v6, v17, v48
	v_add_f32_e32 v12, v17, v12
	;; [unrolled: 1-line block ×17, first 2 shown]
	v_sub_f32_e32 v17, v45, v52
	v_mul_f32_e32 v47, v74, v65
	v_add_f32_e32 v10, v44, v51
	v_mul_f32_e32 v63, 0xbf2c7751, v17
	v_fmac_f32_e32 v47, v86, v64
	v_fma_f32 v64, v10, s7, -v63
	v_fmac_f32_e32 v63, 0x3f3d2fb0, v10
	v_add_f32_e32 v11, v63, v11
	v_mul_f32_e32 v63, 0xbf7ee86f, v17
	v_add_f32_e32 v12, v64, v12
	v_fma_f32 v64, v10, s11, -v63
	v_fmac_f32_e32 v63, 0x3dbcf732, v10
	v_add_f32_e32 v13, v63, v13
	v_mul_f32_e32 v63, 0xbf4c4adb, v17
	v_add_f32_e32 v14, v64, v14
	v_fma_f32 v64, v10, s13, -v63
	v_fmac_f32_e32 v63, 0xbf1a4643, v10
	v_add_f32_e32 v15, v63, v15
	v_mul_f32_e32 v63, 0xbe3c28d5, v17
	v_add_f32_e32 v16, v64, v16
	v_fma_f32 v64, v10, s17, -v63
	v_fmac_f32_e32 v63, 0xbf7ba420, v10
	v_add_f32_e32 v50, v63, v50
	v_mul_f32_e32 v63, 0x3f06c442, v17
	v_add_f32_e32 v53, v64, v53
	v_fma_f32 v64, v10, s16, -v63
	v_fmac_f32_e32 v63, 0xbf59a7d5, v10
	v_add_f32_e32 v54, v63, v54
	v_mul_f32_e32 v63, 0x3f763a35, v17
	v_add_f32_e32 v55, v64, v55
	v_fma_f32 v64, v10, s12, -v63
	v_fmac_f32_e32 v63, 0xbe8c1d8e, v10
	v_add_f32_e32 v56, v63, v56
	v_mul_f32_e32 v63, 0x3f65296c, v17
	v_add_f32_e32 v59, v64, v59
	v_fma_f32 v64, v10, s10, -v63
	v_fmac_f32_e32 v63, 0x3ee437d1, v10
	v_mul_f32_e32 v17, 0x3eb8f4ab, v17
	v_add_f32_e32 v60, v63, v60
	v_fma_f32 v63, v10, s6, -v17
	v_fmac_f32_e32 v17, 0x3f6eb680, v10
	v_add_f32_e32 v9, v17, v9
	v_sub_f32_e32 v17, v40, v47
	v_add_f32_e32 v62, v63, v62
	v_add_f32_e32 v10, v39, v46
	v_mul_f32_e32 v63, 0xbf65296c, v17
	v_add_f32_e32 v61, v64, v61
	v_fma_f32 v64, v10, s10, -v63
	v_fmac_f32_e32 v63, 0x3ee437d1, v10
	v_add_f32_e32 v11, v63, v11
	v_mul_f32_e32 v63, 0xbf4c4adb, v17
	v_add_f32_e32 v12, v64, v12
	v_fma_f32 v64, v10, s13, -v63
	v_fmac_f32_e32 v63, 0xbf1a4643, v10
	v_add_f32_e32 v13, v63, v13
	v_mul_f32_e32 v63, 0x3e3c28d5, v17
	v_add_f32_e32 v14, v64, v14
	v_fma_f32 v64, v10, s17, -v63
	v_fmac_f32_e32 v63, 0xbf7ba420, v10
	v_add_f32_e32 v15, v63, v15
	v_mul_f32_e32 v63, 0x3f763a35, v17
	v_add_f32_e32 v16, v64, v16
	v_fma_f32 v64, v10, s12, -v63
	v_fmac_f32_e32 v63, 0xbe8c1d8e, v10
	v_add_f32_e32 v50, v63, v50
	v_mul_f32_e32 v63, 0x3f2c7751, v17
	v_add_f32_e32 v53, v64, v53
	v_fma_f32 v64, v10, s7, -v63
	v_fmac_f32_e32 v63, 0x3f3d2fb0, v10
	v_add_f32_e32 v54, v63, v54
	v_mul_f32_e32 v63, 0xbeb8f4ab, v17
	v_add_f32_e32 v55, v64, v55
	v_fma_f32 v64, v10, s6, -v63
	v_fmac_f32_e32 v63, 0x3f6eb680, v10
	v_add_f32_e32 v56, v63, v56
	v_mul_f32_e32 v63, 0xbf7ee86f, v17
	v_add_f32_e32 v59, v64, v59
	v_fma_f32 v64, v10, s11, -v63
	v_fmac_f32_e32 v63, 0x3dbcf732, v10
	v_mul_f32_e32 v17, 0xbf06c442, v17
	v_add_f32_e32 v60, v63, v60
	v_fma_f32 v63, v10, s16, -v17
	v_fmac_f32_e32 v17, 0xbf59a7d5, v10
	v_add_f32_e32 v9, v17, v9
	v_sub_f32_e32 v17, v37, v43
	v_add_f32_e32 v62, v63, v62
	v_add_f32_e32 v10, v35, v42
	v_mul_f32_e32 v63, 0xbf7ee86f, v17
	v_add_f32_e32 v61, v64, v61
	;; [unrolled: 42-line block ×5, first 2 shown]
	v_fma_f32 v64, v10, s16, -v63
	v_fmac_f32_e32 v63, 0xbf59a7d5, v10
	v_add_f32_e32 v11, v63, v11
	v_mul_f32_e32 v63, 0x3f65296c, v17
	v_add_f32_e32 v12, v64, v12
	v_fma_f32 v64, v10, s10, -v63
	v_fmac_f32_e32 v63, 0x3ee437d1, v10
	v_add_f32_e32 v13, v63, v13
	v_mul_f32_e32 v63, 0xbf7ee86f, v17
	v_add_f32_e32 v14, v64, v14
	;; [unrolled: 5-line block ×3, first 2 shown]
	v_fma_f32 v64, v10, s13, -v63
	v_add_f32_e32 v64, v64, v53
	v_fmac_f32_e32 v63, 0xbf1a4643, v10
	v_mul_f32_e32 v53, 0xbeb8f4ab, v17
	v_add_f32_e32 v50, v63, v50
	v_fma_f32 v63, v10, s6, -v53
	v_fmac_f32_e32 v53, 0x3f6eb680, v10
	v_add_f32_e32 v65, v53, v54
	v_mul_f32_e32 v53, 0xbe3c28d5, v17
	v_fma_f32 v54, v10, s17, -v53
	v_fmac_f32_e32 v53, 0xbf7ba420, v10
	v_add_f32_e32 v66, v53, v56
	v_mul_f32_e32 v53, 0x3f2c7751, v17
	v_add_f32_e32 v59, v54, v59
	v_fma_f32 v54, v10, s7, -v53
	v_fmac_f32_e32 v53, 0x3f3d2fb0, v10
	v_mul_f32_e32 v17, 0xbf763a35, v17
	v_add_f32_e32 v60, v53, v60
	v_fma_f32 v53, v10, s12, -v17
	v_fmac_f32_e32 v17, 0xbe8c1d8e, v10
	v_sub_f32_e32 v68, v18, v21
	v_add_f32_e32 v17, v17, v9
	v_add_f32_e32 v67, v0, v19
	v_mul_f32_e32 v9, 0xbe3c28d5, v68
	v_fma_f32 v10, v67, s17, -v9
	v_fmac_f32_e32 v9, 0xbf7ba420, v67
	v_add_f32_e32 v62, v53, v62
	v_add_f32_e32 v53, v9, v11
	v_mul_f32_e32 v9, 0x3eb8f4ab, v68
	v_add_f32_e32 v6, v6, v44
	v_add_f32_e32 v69, v10, v12
	v_fma_f32 v10, v67, s6, -v9
	v_fmac_f32_e32 v9, 0x3f6eb680, v67
	v_add_f32_e32 v6, v6, v39
	v_add_f32_e32 v61, v54, v61
	v_add_f32_e32 v54, v9, v13
	v_mul_f32_e32 v9, 0xbf06c442, v68
	v_add_f32_e32 v6, v6, v35
	v_add_f32_e32 v70, v10, v14
	v_fma_f32 v10, v67, s16, -v9
	v_fmac_f32_e32 v9, 0xbf59a7d5, v67
	v_add_f32_e32 v6, v6, v33
	;; [unrolled: 8-line block ×3, first 2 shown]
	v_add_f32_e32 v56, v9, v50
	v_mul_f32_e32 v9, 0xbf4c4adb, v68
	v_add_f32_e32 v6, v6, v0
	v_add_f32_e32 v15, v10, v64
	v_fma_f32 v10, v67, s13, -v9
	v_fmac_f32_e32 v9, 0xbf1a4643, v67
	v_add_f32_e32 v6, v6, v19
	v_add_f32_e32 v50, v9, v65
	v_mul_f32_e32 v9, 0x3f65296c, v68
	v_add_f32_e32 v6, v6, v26
	v_add_f32_e32 v63, v10, v63
	v_fma_f32 v10, v67, s10, -v9
	v_add_f32_e32 v6, v6, v31
	v_add_f32_e32 v13, v10, v59
	v_mul_f32_e32 v10, 0xbf763a35, v68
	v_add_f32_e32 v6, v6, v36
	v_fma_f32 v11, v67, s12, -v10
	v_mul_f32_e32 v12, 0x3f7ee86f, v68
	v_add_f32_e32 v6, v6, v42
	v_add_f32_e32 v14, v11, v61
	v_fma_f32 v11, v67, s11, -v12
	v_fmac_f32_e32 v12, 0x3dbcf732, v67
	v_add_f32_e32 v6, v6, v46
	v_add_f32_e32 v12, v12, v17
	v_mov_b32_e32 v17, 2
	v_add_f32_e32 v6, v6, v51
	v_fmac_f32_e32 v9, 0x3ee437d1, v67
	v_fmac_f32_e32 v10, 0xbe8c1d8e, v67
	v_lshlrev_b32_sdwa v7, v17, v7 dst_sel:DWORD dst_unused:UNUSED_PAD src0_sel:DWORD src1_sel:BYTE_0
	v_add_f32_e32 v6, v6, v57
	v_add_f32_e32 v9, v9, v66
	;; [unrolled: 1-line block ×4, first 2 shown]
	v_add3_u32 v59, 0, v8, v7
	ds_write2_b32 v59, v6, v69 offset1:17
	ds_write2_b32 v59, v70, v16 offset0:34 offset1:51
	ds_write2_b32 v59, v15, v63 offset0:68 offset1:85
	;; [unrolled: 1-line block ×7, first 2 shown]
	ds_write_b32 v59, v53 offset:1088
	s_waitcnt lgkmcnt(0)
	s_barrier
	ds_read2_b32 v[6:7], v30 offset1:102
	ds_read2_b32 v[8:9], v20 offset0:33 offset1:135
	ds_read2_b32 v[14:15], v22 offset0:66 offset1:168
	;; [unrolled: 1-line block ×3, first 2 shown]
	v_add_u32_e32 v61, 0x1000, v30
	v_add_u32_e32 v62, 0x1600, v30
	ds_read2_b32 v[16:17], v61 offset0:132 offset1:234
	ds_read2_b32 v[12:13], v62 offset0:37 offset1:139
                                        ; implicit-def: $vgpr60
	s_and_saveexec_b64 s[4:5], vcc
	s_cbranch_execz .LBB0_15
; %bb.14:
	ds_read_b32 v50, v30 offset:816
	ds_read_b32 v56, v30 offset:1972
	;; [unrolled: 1-line block ×6, first 2 shown]
.LBB0_15:
	s_or_b64 exec, exec, s[4:5]
	v_add_f32_e32 v63, v5, v49
	v_add_f32_e32 v63, v63, v45
	;; [unrolled: 1-line block ×14, first 2 shown]
	v_sub_f32_e32 v48, v48, v57
	v_add_f32_e32 v63, v63, v52
	v_mul_f32_e32 v57, 0xbeb8f4ab, v48
	v_mul_f32_e32 v64, 0xbf2c7751, v48
	;; [unrolled: 1-line block ×8, first 2 shown]
	v_add_f32_e32 v63, v63, v58
	v_add_f32_e32 v49, v49, v58
	v_mov_b32_e32 v58, v57
	v_mov_b32_e32 v65, v64
	;; [unrolled: 1-line block ×8, first 2 shown]
	v_fmac_f32_e32 v58, 0x3f6eb680, v49
	v_fma_f32 v57, v49, s6, -v57
	v_fmac_f32_e32 v65, 0x3f3d2fb0, v49
	v_fma_f32 v64, v49, s7, -v64
	;; [unrolled: 2-line block ×8, first 2 shown]
	v_sub_f32_e32 v44, v44, v51
	v_add_f32_e32 v58, v5, v58
	v_add_f32_e32 v57, v5, v57
	;; [unrolled: 1-line block ×17, first 2 shown]
	v_mul_f32_e32 v48, 0xbf2c7751, v44
	v_mov_b32_e32 v49, v48
	v_fma_f32 v48, v45, s7, -v48
	v_mul_f32_e32 v51, 0xbf7ee86f, v44
	v_fmac_f32_e32 v49, 0x3f3d2fb0, v45
	v_add_f32_e32 v48, v48, v57
	v_mov_b32_e32 v52, v51
	v_fma_f32 v51, v45, s11, -v51
	v_mul_f32_e32 v57, 0xbf4c4adb, v44
	v_add_f32_e32 v49, v49, v58
	v_fmac_f32_e32 v52, 0x3dbcf732, v45
	v_add_f32_e32 v51, v51, v64
	v_mov_b32_e32 v58, v57
	v_fma_f32 v57, v45, s13, -v57
	v_mul_f32_e32 v64, 0xbe3c28d5, v44
	v_add_f32_e32 v52, v52, v65
	v_fmac_f32_e32 v58, 0xbf1a4643, v45
	v_add_f32_e32 v57, v57, v66
	v_mov_b32_e32 v65, v64
	v_fma_f32 v64, v45, s17, -v64
	v_mul_f32_e32 v66, 0x3f06c442, v44
	v_add_f32_e32 v58, v58, v67
	v_fmac_f32_e32 v65, 0xbf7ba420, v45
	v_add_f32_e32 v64, v64, v68
	v_mov_b32_e32 v67, v66
	v_fma_f32 v66, v45, s16, -v66
	v_mul_f32_e32 v68, 0x3f763a35, v44
	v_add_f32_e32 v65, v65, v69
	v_add_f32_e32 v66, v66, v70
	v_mov_b32_e32 v69, v68
	v_fma_f32 v68, v45, s12, -v68
	v_mul_f32_e32 v70, 0x3f65296c, v44
	v_mul_f32_e32 v44, 0x3eb8f4ab, v44
	v_fmac_f32_e32 v67, 0xbf59a7d5, v45
	v_add_f32_e32 v68, v68, v72
	v_mov_b32_e32 v72, v44
	v_fma_f32 v44, v45, s6, -v44
	v_sub_f32_e32 v39, v39, v46
	v_add_f32_e32 v67, v67, v71
	v_mov_b32_e32 v71, v70
	v_add_f32_e32 v5, v44, v5
	v_add_f32_e32 v40, v40, v47
	v_mul_f32_e32 v44, 0xbf65296c, v39
	v_fmac_f32_e32 v69, 0xbe8c1d8e, v45
	v_fmac_f32_e32 v71, 0x3ee437d1, v45
	v_fma_f32 v70, v45, s10, -v70
	v_fmac_f32_e32 v72, 0x3f6eb680, v45
	v_mov_b32_e32 v45, v44
	v_fma_f32 v44, v40, s10, -v44
	v_mul_f32_e32 v46, 0xbf4c4adb, v39
	v_fmac_f32_e32 v45, 0x3ee437d1, v40
	v_add_f32_e32 v44, v44, v48
	v_mov_b32_e32 v47, v46
	v_fma_f32 v46, v40, s13, -v46
	v_mul_f32_e32 v48, 0x3e3c28d5, v39
	v_add_f32_e32 v45, v45, v49
	v_fmac_f32_e32 v47, 0xbf1a4643, v40
	v_add_f32_e32 v46, v46, v51
	v_mov_b32_e32 v49, v48
	v_fma_f32 v48, v40, s17, -v48
	v_mul_f32_e32 v51, 0x3f763a35, v39
	v_add_f32_e32 v47, v47, v52
	v_fmac_f32_e32 v49, 0xbf7ba420, v40
	v_add_f32_e32 v48, v48, v57
	v_mov_b32_e32 v52, v51
	v_fma_f32 v51, v40, s12, -v51
	v_mul_f32_e32 v57, 0x3f2c7751, v39
	v_add_f32_e32 v49, v49, v58
	v_fmac_f32_e32 v52, 0xbe8c1d8e, v40
	v_add_f32_e32 v51, v51, v64
	v_mov_b32_e32 v58, v57
	v_fma_f32 v57, v40, s7, -v57
	v_mul_f32_e32 v64, 0xbeb8f4ab, v39
	v_add_f32_e32 v52, v52, v65
	v_add_f32_e32 v57, v57, v66
	v_mov_b32_e32 v65, v64
	v_fma_f32 v64, v40, s6, -v64
	v_mul_f32_e32 v66, 0xbf7ee86f, v39
	v_mul_f32_e32 v39, 0xbf06c442, v39
	v_fmac_f32_e32 v58, 0x3f3d2fb0, v40
	v_add_f32_e32 v64, v64, v68
	v_mov_b32_e32 v68, v39
	v_fma_f32 v39, v40, s16, -v39
	v_sub_f32_e32 v35, v35, v42
	v_add_f32_e32 v58, v58, v67
	v_mov_b32_e32 v67, v66
	v_add_f32_e32 v5, v39, v5
	v_add_f32_e32 v37, v37, v43
	v_mul_f32_e32 v39, 0xbf7ee86f, v35
	v_fmac_f32_e32 v65, 0x3f6eb680, v40
	v_fmac_f32_e32 v67, 0x3dbcf732, v40
	v_fma_f32 v66, v40, s11, -v66
	v_fmac_f32_e32 v68, 0xbf59a7d5, v40
	;; [unrolled: 46-line block ×3, first 2 shown]
	v_mov_b32_e32 v36, v35
	v_fma_f32 v35, v34, s12, -v35
	v_mul_f32_e32 v37, 0x3f06c442, v33
	v_fmac_f32_e32 v36, 0xbe8c1d8e, v34
	v_add_f32_e32 v35, v35, v39
	v_mov_b32_e32 v38, v37
	v_fma_f32 v37, v34, s16, -v37
	v_mul_f32_e32 v39, 0x3f2c7751, v33
	v_add_f32_e32 v36, v36, v40
	v_fmac_f32_e32 v38, 0xbf59a7d5, v34
	v_add_f32_e32 v37, v37, v42
	v_mov_b32_e32 v40, v39
	v_fma_f32 v39, v34, s7, -v39
	v_mul_f32_e32 v42, 0xbf65296c, v33
	v_add_f32_e32 v38, v38, v43
	;; [unrolled: 6-line block ×4, first 2 shown]
	v_add_f32_e32 v44, v44, v48
	v_mov_b32_e32 v47, v46
	v_fma_f32 v46, v34, s11, -v46
	v_mul_f32_e32 v48, 0xbeb8f4ab, v33
	v_mul_f32_e32 v33, 0xbf4c4adb, v33
	v_sub_f32_e32 v28, v28, v31
	v_fmac_f32_e32 v45, 0xbf7ba420, v34
	v_add_f32_e32 v46, v46, v51
	v_mov_b32_e32 v51, v33
	v_fma_f32 v33, v34, s13, -v33
	v_add_f32_e32 v29, v29, v32
	v_mul_f32_e32 v31, 0xbf4c4adb, v28
	v_add_f32_e32 v45, v45, v49
	v_mov_b32_e32 v49, v48
	v_add_f32_e32 v5, v33, v5
	v_mov_b32_e32 v32, v31
	v_fma_f32 v31, v29, s13, -v31
	v_mul_f32_e32 v33, 0x3f763a35, v28
	v_fmac_f32_e32 v47, 0x3dbcf732, v34
	v_fmac_f32_e32 v49, 0x3f6eb680, v34
	v_fma_f32 v48, v34, s6, -v48
	v_fmac_f32_e32 v51, 0xbf1a4643, v34
	v_fmac_f32_e32 v32, 0xbf1a4643, v29
	v_add_f32_e32 v31, v31, v35
	v_mov_b32_e32 v34, v33
	v_fma_f32 v33, v29, s12, -v33
	v_mul_f32_e32 v35, 0xbeb8f4ab, v28
	v_add_f32_e32 v32, v32, v36
	v_fmac_f32_e32 v34, 0xbe8c1d8e, v29
	v_add_f32_e32 v33, v33, v37
	v_mov_b32_e32 v36, v35
	v_fma_f32 v35, v29, s6, -v35
	v_mul_f32_e32 v37, 0xbf06c442, v28
	v_add_f32_e32 v34, v34, v38
	;; [unrolled: 6-line block ×4, first 2 shown]
	v_add_f32_e32 v39, v39, v44
	v_mov_b32_e32 v43, v42
	v_fma_f32 v42, v29, s7, -v42
	v_mul_f32_e32 v44, 0xbe3c28d5, v28
	v_mul_f32_e32 v28, 0x3f65296c, v28
	v_sub_f32_e32 v24, v24, v26
	v_fmac_f32_e32 v40, 0x3dbcf732, v29
	v_add_f32_e32 v42, v42, v46
	v_mov_b32_e32 v46, v28
	v_fma_f32 v28, v29, s10, -v28
	v_add_f32_e32 v25, v25, v27
	v_mul_f32_e32 v26, 0xbf06c442, v24
	v_add_f32_e32 v40, v40, v45
	v_mov_b32_e32 v45, v44
	v_add_f32_e32 v5, v28, v5
	v_mov_b32_e32 v27, v26
	v_fma_f32 v26, v25, s16, -v26
	v_mul_f32_e32 v28, 0x3f65296c, v24
	v_fmac_f32_e32 v43, 0x3f3d2fb0, v29
	v_fmac_f32_e32 v45, 0xbf7ba420, v29
	v_fma_f32 v44, v29, s17, -v44
	v_fmac_f32_e32 v46, 0x3ee437d1, v29
	v_fmac_f32_e32 v27, 0xbf59a7d5, v25
	v_add_f32_e32 v26, v26, v31
	v_mov_b32_e32 v29, v28
	v_mul_f32_e32 v31, 0xbf7ee86f, v24
	v_add_f32_e32 v27, v27, v32
	v_fmac_f32_e32 v29, 0x3ee437d1, v25
	v_mov_b32_e32 v32, v31
	v_fma_f32 v31, v25, s11, -v31
	v_add_f32_e32 v29, v29, v34
	v_fma_f32 v28, v25, s10, -v28
	v_fmac_f32_e32 v32, 0x3dbcf732, v25
	v_add_f32_e32 v34, v31, v35
	v_mul_f32_e32 v31, 0x3f4c4adb, v24
	v_add_f32_e32 v28, v28, v33
	v_add_f32_e32 v33, v32, v36
	v_mov_b32_e32 v32, v31
	v_fma_f32 v31, v25, s13, -v31
	v_add_f32_e32 v69, v69, v73
	v_fmac_f32_e32 v32, 0xbf1a4643, v25
	v_add_f32_e32 v36, v31, v37
	v_mul_f32_e32 v31, 0xbeb8f4ab, v24
	v_add_f32_e32 v70, v70, v74
	v_add_f32_e32 v65, v65, v69
	;; [unrolled: 1-line block ×3, first 2 shown]
	v_mov_b32_e32 v32, v31
	v_fma_f32 v31, v25, s6, -v31
	v_add_f32_e32 v66, v66, v70
	v_add_f32_e32 v52, v52, v65
	v_fmac_f32_e32 v32, 0x3f6eb680, v25
	v_add_f32_e32 v38, v31, v39
	v_mul_f32_e32 v31, 0xbe3c28d5, v24
	v_add_f32_e32 v57, v57, v66
	v_add_f32_e32 v47, v47, v52
	;; [unrolled: 1-line block ×3, first 2 shown]
	v_mov_b32_e32 v32, v31
	v_fma_f32 v31, v25, s17, -v31
	v_add_f32_e32 v72, v72, v76
	v_add_f32_e32 v48, v48, v57
	;; [unrolled: 1-line block ×3, first 2 shown]
	v_fmac_f32_e32 v32, 0xbf7ba420, v25
	v_add_f32_e32 v40, v31, v42
	v_mul_f32_e32 v31, 0x3f2c7751, v24
	v_add_f32_e32 v68, v68, v72
	v_add_f32_e32 v44, v44, v48
	;; [unrolled: 1-line block ×3, first 2 shown]
	v_mov_b32_e32 v32, v31
	v_fma_f32 v31, v25, s7, -v31
	v_mul_f32_e32 v24, 0xbf763a35, v24
	v_add_f32_e32 v71, v71, v75
	v_add_f32_e32 v64, v64, v68
	;; [unrolled: 1-line block ×3, first 2 shown]
	v_mov_b32_e32 v31, v24
	v_fma_f32 v24, v25, s12, -v24
	v_sub_f32_e32 v0, v0, v19
	v_add_f32_e32 v67, v67, v71
	v_add_f32_e32 v51, v51, v64
	;; [unrolled: 1-line block ×4, first 2 shown]
	v_mul_f32_e32 v5, 0xbe3c28d5, v0
	v_add_f32_e32 v58, v58, v67
	v_add_f32_e32 v46, v46, v51
	v_fmac_f32_e32 v31, 0xbe8c1d8e, v25
	v_mov_b32_e32 v19, v5
	v_fma_f32 v5, v18, s17, -v5
	v_add_f32_e32 v49, v49, v58
	v_add_f32_e32 v44, v31, v46
	;; [unrolled: 1-line block ×3, first 2 shown]
	v_mul_f32_e32 v5, 0x3eb8f4ab, v0
	v_add_f32_e32 v45, v45, v49
	v_fmac_f32_e32 v32, 0x3f3d2fb0, v25
	v_mov_b32_e32 v21, v5
	v_fma_f32 v5, v18, s6, -v5
	v_add_f32_e32 v42, v32, v45
	v_add_f32_e32 v32, v5, v28
	v_mul_f32_e32 v5, 0xbf06c442, v0
	v_mov_b32_e32 v25, v5
	v_fmac_f32_e32 v25, 0xbf59a7d5, v18
	v_fma_f32 v5, v18, s16, -v5
	v_add_f32_e32 v25, v25, v33
	v_add_f32_e32 v33, v5, v34
	v_mul_f32_e32 v5, 0x3f2c7751, v0
	v_mov_b32_e32 v26, v5
	v_fma_f32 v5, v18, s7, -v5
	v_fmac_f32_e32 v19, 0xbf7ba420, v18
	v_add_f32_e32 v34, v5, v36
	v_mul_f32_e32 v5, 0xbf4c4adb, v0
	v_add_f32_e32 v19, v19, v27
	v_fmac_f32_e32 v21, 0x3f6eb680, v18
	v_fmac_f32_e32 v26, 0x3f3d2fb0, v18
	v_mov_b32_e32 v27, v5
	v_mul_f32_e32 v28, 0x3f65296c, v0
	v_add_f32_e32 v21, v21, v29
	v_add_f32_e32 v26, v26, v35
	v_fmac_f32_e32 v27, 0xbf1a4643, v18
	v_mov_b32_e32 v29, v28
	v_mul_f32_e32 v35, 0xbf763a35, v0
	v_mul_f32_e32 v0, 0x3f7ee86f, v0
	v_add_f32_e32 v27, v27, v37
	v_fmac_f32_e32 v29, 0x3ee437d1, v18
	v_fma_f32 v28, v18, s10, -v28
	v_mov_b32_e32 v36, v35
	v_mov_b32_e32 v37, v0
	v_fma_f32 v5, v18, s13, -v5
	v_add_f32_e32 v29, v29, v39
	v_add_f32_e32 v28, v28, v40
	v_fmac_f32_e32 v36, 0xbe8c1d8e, v18
	v_fma_f32 v35, v18, s12, -v35
	v_fmac_f32_e32 v37, 0x3dbcf732, v18
	v_fma_f32 v0, v18, s11, -v0
	v_add_f32_e32 v5, v5, v38
	v_add_f32_e32 v36, v36, v42
	;; [unrolled: 1-line block ×5, first 2 shown]
	s_waitcnt lgkmcnt(0)
	s_barrier
	ds_write2_b32 v59, v63, v19 offset1:17
	ds_write2_b32 v59, v21, v25 offset0:34 offset1:51
	ds_write2_b32 v59, v26, v27 offset0:68 offset1:85
	;; [unrolled: 1-line block ×7, first 2 shown]
	ds_write_b32 v59, v31 offset:1088
	s_waitcnt lgkmcnt(0)
	s_barrier
	ds_read2_b32 v[18:19], v30 offset1:102
	ds_read2_b32 v[20:21], v20 offset0:33 offset1:135
	ds_read2_b32 v[28:29], v22 offset0:66 offset1:168
	;; [unrolled: 1-line block ×5, first 2 shown]
                                        ; implicit-def: $vgpr35
	s_and_saveexec_b64 s[4:5], vcc
	s_cbranch_execz .LBB0_17
; %bb.16:
	ds_read_b32 v5, v30 offset:816
	ds_read_b32 v34, v30 offset:1972
	;; [unrolled: 1-line block ×6, first 2 shown]
.LBB0_17:
	s_or_b64 exec, exec, s[4:5]
	s_and_saveexec_b64 s[4:5], s[0:1]
	s_cbranch_execz .LBB0_20
; %bb.18:
	v_add_u32_e32 v0, 0x66, v41
	v_mul_u32_u24_e32 v30, 5, v41
	v_mul_u32_u24_e32 v0, 5, v0
	v_lshlrev_b32_e32 v30, 3, v30
	v_lshlrev_b32_e32 v0, 3, v0
	global_load_dwordx4 v[36:39], v30, s[8:9] offset:2192
	global_load_dwordx4 v[42:45], v0, s[8:9] offset:2176
	;; [unrolled: 1-line block ×3, first 2 shown]
	global_load_dwordx2 v[51:52], v0, s[8:9] offset:2208
	global_load_dwordx4 v[61:64], v30, s[8:9] offset:2176
	global_load_dwordx2 v[57:58], v30, s[8:9] offset:2208
	v_mul_lo_u32 v0, s3, v3
	v_mul_lo_u32 v40, s2, v4
	v_mad_u64_u32 v[3:4], s[0:1], s2, v3, 0
	s_mov_b32 s2, 0xe2c4a689
	s_movk_i32 s3, 0x121
	v_add3_u32 v4, v4, v40, v0
	v_lshlrev_b64 v[3:4], 3, v[3:4]
	v_add_co_u32_e64 v3, s[0:1], s14, v3
	s_waitcnt vmcnt(5) lgkmcnt(1)
	v_mul_f32_e32 v0, v26, v39
	s_waitcnt vmcnt(4)
	v_mul_f32_e32 v30, v29, v45
	s_waitcnt vmcnt(3)
	v_mul_f32_e32 v40, v27, v49
	v_mul_f32_e32 v45, v15, v45
	;; [unrolled: 1-line block ×4, first 2 shown]
	s_waitcnt vmcnt(2) lgkmcnt(0)
	v_mul_f32_e32 v66, v23, v52
	v_mul_f32_e32 v47, v11, v47
	;; [unrolled: 1-line block ×5, first 2 shown]
	v_fmac_f32_e32 v45, v29, v44
	v_fmac_f32_e32 v49, v27, v48
	;; [unrolled: 1-line block ×4, first 2 shown]
	v_fma_f32 v15, v15, v44, -v30
	v_fma_f32 v17, v17, v48, -v40
	;; [unrolled: 1-line block ×4, first 2 shown]
	v_fmac_f32_e32 v43, v21, v42
	v_add_f32_e32 v25, v45, v49
	v_add_f32_e32 v29, v47, v52
	v_fma_f32 v9, v9, v42, -v59
	v_add_f32_e32 v27, v11, v13
	v_add_f32_e32 v30, v19, v45
	;; [unrolled: 1-line block ×3, first 2 shown]
	v_fma_f32 v19, -0.5, v25, v19
	v_fma_f32 v25, -0.5, v29, v43
	v_sub_f32_e32 v23, v15, v17
	v_sub_f32_e32 v40, v47, v52
	;; [unrolled: 1-line block ×3, first 2 shown]
	v_add_f32_e32 v42, v43, v47
	v_add_f32_e32 v15, v7, v15
	;; [unrolled: 1-line block ×3, first 2 shown]
	v_fma_f32 v9, -0.5, v27, v9
	v_fma_f32 v7, -0.5, v46, v7
	v_mov_b32_e32 v46, v25
	v_add_f32_e32 v27, v30, v49
	v_add_f32_e32 v42, v42, v52
	;; [unrolled: 1-line block ×4, first 2 shown]
	v_mov_b32_e32 v13, v19
	v_mov_b32_e32 v17, v9
	v_fmac_f32_e32 v9, 0x3f5db3d7, v40
	v_fmac_f32_e32 v46, 0x3f5db3d7, v44
	;; [unrolled: 1-line block ×4, first 2 shown]
	v_sub_f32_e32 v30, v27, v42
	v_sub_f32_e32 v29, v15, v11
	v_add_f32_e32 v43, v27, v42
	v_add_f32_e32 v42, v15, v11
	v_fmac_f32_e32 v13, 0x3f5db3d7, v23
	v_fmac_f32_e32 v17, 0xbf5db3d7, v40
	v_mul_f32_e32 v11, 0xbf5db3d7, v9
	v_mul_f32_e32 v23, -0.5, v46
	v_sub_f32_e32 v45, v45, v49
	v_mov_b32_e32 v51, v7
	v_mul_f32_e32 v15, 0x3f5db3d7, v25
	v_fmac_f32_e32 v11, 0.5, v25
	v_mul_f32_e32 v25, -0.5, v17
	v_fmac_f32_e32 v23, 0xbf5db3d7, v17
	s_waitcnt vmcnt(0)
	v_mul_f32_e32 v17, v22, v58
	v_fma_f32 v0, v16, v38, -v0
	v_fmac_f32_e32 v7, 0x3f5db3d7, v45
	v_fmac_f32_e32 v51, 0xbf5db3d7, v45
	v_fmac_f32_e32 v15, 0.5, v9
	v_sub_f32_e32 v45, v19, v11
	v_fmac_f32_e32 v25, 0x3f5db3d7, v46
	v_add_f32_e32 v47, v19, v11
	v_sub_f32_e32 v49, v13, v23
	v_add_f32_e32 v52, v13, v23
	v_mul_f32_e32 v9, v14, v64
	v_mul_f32_e32 v11, v16, v39
	;; [unrolled: 1-line block ×3, first 2 shown]
	v_fma_f32 v17, v12, v57, -v17
	v_mul_f32_e32 v23, v10, v37
	v_mul_f32_e32 v12, v12, v58
	v_sub_f32_e32 v44, v7, v15
	v_add_f32_e32 v46, v7, v15
	v_sub_f32_e32 v48, v51, v25
	v_add_f32_e32 v51, v51, v25
	v_fmac_f32_e32 v9, v28, v63
	v_fmac_f32_e32 v11, v26, v38
	v_mul_f32_e32 v15, v20, v62
	v_fma_f32 v16, v10, v36, -v16
	v_fmac_f32_e32 v23, v24, v36
	v_fmac_f32_e32 v12, v22, v57
	v_mul_f32_e32 v25, v8, v62
	v_mul_f32_e32 v67, v28, v64
	v_add_f32_e32 v13, v9, v11
	v_fma_f32 v15, v8, v61, -v15
	v_add_f32_e32 v19, v16, v17
	v_fmac_f32_e32 v25, v20, v61
	v_add_f32_e32 v8, v23, v12
	v_fma_f32 v21, v14, v63, -v67
	v_fma_f32 v13, -0.5, v13, v18
	v_fma_f32 v19, -0.5, v19, v15
	v_sub_f32_e32 v10, v23, v12
	v_fma_f32 v20, -0.5, v8, v25
	v_sub_f32_e32 v7, v21, v0
	v_mov_b32_e32 v14, v13
	v_mov_b32_e32 v22, v19
	v_sub_f32_e32 v24, v16, v17
	v_mov_b32_e32 v26, v20
	v_fmac_f32_e32 v19, 0x3f5db3d7, v10
	v_fmac_f32_e32 v14, 0x3f5db3d7, v7
	;; [unrolled: 1-line block ×5, first 2 shown]
	v_mul_f32_e32 v24, 0xbf5db3d7, v19
	v_add_f32_e32 v7, v18, v9
	v_fmac_f32_e32 v24, 0.5, v20
	v_add_f32_e32 v18, v7, v11
	v_add_f32_e32 v7, v25, v23
	v_mul_f32_e32 v20, 0x3f5db3d7, v20
	v_add_f32_e32 v23, v7, v12
	v_add_f32_e32 v7, v21, v0
	v_fmac_f32_e32 v20, 0.5, v19
	v_mul_hi_u32 v19, v41, s2
	v_fma_f32 v25, -0.5, v7, v6
	v_add_f32_e32 v6, v6, v21
	v_add_f32_e32 v0, v6, v0
	;; [unrolled: 1-line block ×4, first 2 shown]
	v_sub_f32_e32 v9, v9, v11
	v_sub_f32_e32 v11, v0, v6
	v_add_f32_e32 v17, v0, v6
	v_lshrrev_b32_e32 v0, 8, v19
	v_mul_u32_u24_e32 v0, 0x121, v0
	v_sub_u32_e32 v19, v41, v0
	v_mov_b32_e32 v0, s15
	v_addc_co_u32_e64 v6, s[0:1], v0, v4, s[0:1]
	v_lshlrev_b64 v[0:1], 3, v[1:2]
	v_fmac_f32_e32 v22, 0xbf5db3d7, v10
	v_add_co_u32_e64 v4, s[0:1], v3, v0
	v_addc_co_u32_e64 v6, s[0:1], v6, v1, s[0:1]
	v_lshlrev_b32_e32 v0, 3, v19
	v_add_co_u32_e64 v2, s[0:1], v4, v0
	v_mul_f32_e32 v27, -0.5, v26
	v_mov_b32_e32 v28, v25
	v_fmac_f32_e32 v25, 0x3f5db3d7, v9
	v_addc_co_u32_e64 v3, s[0:1], 0, v6, s[0:1]
	v_fmac_f32_e32 v27, 0xbf5db3d7, v22
	v_sub_f32_e32 v12, v18, v23
	v_mul_f32_e32 v22, -0.5, v22
	v_add_f32_e32 v18, v18, v23
	v_add_f32_e32 v15, v25, v20
	s_movk_i32 s0, 0x1000
	v_fmac_f32_e32 v28, 0xbf5db3d7, v9
	v_fmac_f32_e32 v22, 0x3f5db3d7, v26
	v_add_f32_e32 v16, v13, v24
	global_store_dwordx2 v[2:3], v[17:18], off
	global_store_dwordx2 v[2:3], v[15:16], off offset:2312
	v_add_co_u32_e64 v15, s[0:1], s0, v2
	v_sub_f32_e32 v8, v14, v27
	v_sub_f32_e32 v10, v13, v24
	v_add_f32_e32 v14, v14, v27
	v_add_f32_e32 v13, v28, v22
	v_addc_co_u32_e64 v16, s[0:1], 0, v3, s[0:1]
	v_add_u32_e32 v0, 0x66, v41
	global_store_dwordx2 v[15:16], v[13:14], off offset:528
	global_store_dwordx2 v[15:16], v[11:12], off offset:2840
	v_mul_hi_u32 v11, v0, s2
	s_movk_i32 s0, 0x2000
	v_add_co_u32_e64 v2, s[0:1], s0, v2
	v_sub_f32_e32 v9, v25, v20
	v_addc_co_u32_e64 v3, s[0:1], 0, v3, s[0:1]
	v_sub_f32_e32 v7, v28, v22
	global_store_dwordx2 v[2:3], v[9:10], off offset:1056
	global_store_dwordx2 v[2:3], v[7:8], off offset:3368
	v_lshrrev_b32_e32 v2, 8, v11
	v_mul_u32_u24_e32 v3, 0x121, v2
	v_sub_u32_e32 v0, v0, v3
	s_movk_i32 s0, 0x6c6
	v_mov_b32_e32 v1, 0
	v_mad_u32_u24 v0, v2, s0, v0
	v_lshlrev_b64 v[2:3], 3, v[0:1]
	v_add_co_u32_e64 v2, s[0:1], v4, v2
	v_addc_co_u32_e64 v3, s[0:1], v6, v3, s[0:1]
	global_store_dwordx2 v[2:3], v[42:43], off
	v_add_u32_e32 v2, 0x121, v0
	v_mov_b32_e32 v3, v1
	v_lshlrev_b64 v[2:3], 3, v[2:3]
	v_add_co_u32_e64 v2, s[0:1], v4, v2
	v_addc_co_u32_e64 v3, s[0:1], v6, v3, s[0:1]
	global_store_dwordx2 v[2:3], v[46:47], off
	v_add_u32_e32 v2, 0x242, v0
	v_mov_b32_e32 v3, v1
	;; [unrolled: 6-line block ×4, first 2 shown]
	v_lshlrev_b64 v[2:3], 3, v[2:3]
	v_add_u32_e32 v0, 0x5a5, v0
	v_add_co_u32_e64 v2, s[0:1], v4, v2
	v_addc_co_u32_e64 v3, s[0:1], v6, v3, s[0:1]
	global_store_dwordx2 v[2:3], v[44:45], off
	v_lshlrev_b64 v[2:3], 3, v[0:1]
	v_add_co_u32_e64 v2, s[0:1], v4, v2
	v_addc_co_u32_e64 v3, s[0:1], v6, v3, s[0:1]
	global_store_dwordx2 v[2:3], v[48:49], off
	v_add_u32_e32 v2, 0xcc, v41
	v_cmp_gt_u32_e64 s[0:1], s3, v2
	s_and_b64 exec, exec, s[0:1]
	s_cbranch_execz .LBB0_20
; %bb.19:
	v_mov_b32_e32 v0, 0xffffffab
	v_mov_b32_e32 v3, 0xcc
	v_cndmask_b32_e32 v0, v0, v3, vcc
	v_add_u32_e32 v0, v41, v0
	v_mul_i32_i24_e32 v0, 5, v0
	v_lshlrev_b64 v[7:8], 3, v[0:1]
	v_mov_b32_e32 v0, s9
	v_add_co_u32_e32 v15, vcc, s8, v7
	v_addc_co_u32_e32 v16, vcc, v0, v8, vcc
	global_load_dwordx4 v[7:10], v[15:16], off offset:2176
	global_load_dwordx4 v[11:14], v[15:16], off offset:2192
	global_load_dwordx2 v[17:18], v[15:16], off offset:2208
	v_add_u32_e32 v0, 0x1ed, v41
	v_lshlrev_b64 v[15:16], 3, v[0:1]
	v_mov_b32_e32 v3, v1
	v_lshlrev_b64 v[2:3], 3, v[2:3]
	v_add_co_u32_e32 v2, vcc, v4, v2
	v_addc_co_u32_e32 v3, vcc, v6, v3, vcc
	v_add_co_u32_e32 v15, vcc, v4, v15
	v_addc_co_u32_e32 v16, vcc, v6, v16, vcc
	s_waitcnt vmcnt(2)
	v_mul_f32_e32 v0, v34, v8
	v_mul_f32_e32 v19, v56, v8
	;; [unrolled: 1-line block ×3, first 2 shown]
	s_waitcnt vmcnt(1)
	v_mul_f32_e32 v20, v32, v12
	v_mul_f32_e32 v12, v54, v12
	s_waitcnt vmcnt(0)
	v_mul_f32_e32 v22, v35, v18
	v_mul_f32_e32 v18, v60, v18
	;; [unrolled: 1-line block ×5, first 2 shown]
	v_fma_f32 v0, v56, v7, -v0
	v_fmac_f32_e32 v19, v34, v7
	v_fma_f32 v7, v55, v9, -v8
	v_fma_f32 v8, v54, v11, -v20
	v_fmac_f32_e32 v12, v32, v11
	v_fma_f32 v11, v60, v17, -v22
	v_fmac_f32_e32 v18, v35, v17
	v_fmac_f32_e32 v10, v33, v9
	v_fma_f32 v9, v53, v13, -v21
	v_fmac_f32_e32 v14, v31, v13
	v_add_f32_e32 v23, v8, v11
	v_sub_f32_e32 v24, v12, v18
	v_add_f32_e32 v25, v19, v12
	v_add_f32_e32 v12, v12, v18
	;; [unrolled: 1-line block ×4, first 2 shown]
	v_sub_f32_e32 v20, v10, v14
	v_add_f32_e32 v21, v5, v10
	v_add_f32_e32 v10, v10, v14
	v_sub_f32_e32 v22, v7, v9
	v_add_f32_e32 v7, v0, v8
	v_fmac_f32_e32 v0, -0.5, v23
	v_fmac_f32_e32 v19, -0.5, v12
	v_sub_f32_e32 v26, v8, v11
	v_add_f32_e32 v9, v13, v9
	v_fmac_f32_e32 v50, -0.5, v17
	v_add_f32_e32 v13, v21, v14
	v_fmac_f32_e32 v5, -0.5, v10
	v_add_f32_e32 v10, v7, v11
	v_add_f32_e32 v11, v25, v18
	v_mov_b32_e32 v12, v0
	v_fmac_f32_e32 v0, 0xbf5db3d7, v24
	v_mov_b32_e32 v18, v19
	v_mov_b32_e32 v14, v50
	v_fmac_f32_e32 v19, 0x3f5db3d7, v26
	v_add_f32_e32 v7, v9, v10
	v_add_f32_e32 v8, v13, v11
	v_sub_f32_e32 v9, v9, v10
	v_sub_f32_e32 v10, v13, v11
	v_fmac_f32_e32 v12, 0x3f5db3d7, v24
	v_fmac_f32_e32 v18, 0xbf5db3d7, v26
	v_mul_f32_e32 v11, -0.5, v0
	v_fmac_f32_e32 v50, 0xbf5db3d7, v20
	v_mov_b32_e32 v17, v5
	v_fmac_f32_e32 v14, 0x3f5db3d7, v20
	v_mul_f32_e32 v13, -0.5, v19
	v_mul_f32_e32 v20, 0x3f5db3d7, v18
	v_fmac_f32_e32 v11, 0x3f5db3d7, v19
	v_mul_f32_e32 v19, 0xbf5db3d7, v12
	v_fmac_f32_e32 v17, 0xbf5db3d7, v22
	v_fmac_f32_e32 v20, 0.5, v12
	v_fmac_f32_e32 v19, 0.5, v18
	global_store_dwordx2 v[2:3], v[7:8], off
	v_fmac_f32_e32 v13, 0xbf5db3d7, v0
	v_add_f32_e32 v2, v50, v11
	v_sub_f32_e32 v7, v50, v11
	v_add_f32_e32 v11, v14, v20
	v_add_f32_e32 v12, v17, v19
	v_add_u32_e32 v0, 0x30e, v41
	global_store_dwordx2 v[15:16], v[11:12], off
	v_lshlrev_b64 v[11:12], 3, v[0:1]
	v_fmac_f32_e32 v5, 0x3f5db3d7, v22
	v_add_co_u32_e32 v11, vcc, v4, v11
	v_add_f32_e32 v3, v5, v13
	v_addc_co_u32_e32 v12, vcc, v6, v12, vcc
	v_add_u32_e32 v0, 0x42f, v41
	global_store_dwordx2 v[11:12], v[2:3], off
	v_lshlrev_b64 v[2:3], 3, v[0:1]
	v_add_u32_e32 v0, 0x550, v41
	v_add_co_u32_e32 v2, vcc, v4, v2
	v_addc_co_u32_e32 v3, vcc, v6, v3, vcc
	global_store_dwordx2 v[2:3], v[9:10], off
	v_lshlrev_b64 v[2:3], 3, v[0:1]
	v_add_u32_e32 v0, 0x671, v41
	v_add_co_u32_e32 v2, vcc, v4, v2
	v_lshlrev_b64 v[0:1], 3, v[0:1]
	v_addc_co_u32_e32 v3, vcc, v6, v3, vcc
	v_add_co_u32_e32 v0, vcc, v4, v0
	v_sub_f32_e32 v8, v5, v13
	v_sub_f32_e32 v13, v14, v20
	;; [unrolled: 1-line block ×3, first 2 shown]
	v_addc_co_u32_e32 v1, vcc, v6, v1, vcc
	global_store_dwordx2 v[2:3], v[13:14], off
	global_store_dwordx2 v[0:1], v[7:8], off
.LBB0_20:
	s_endpgm
	.section	.rodata,"a",@progbits
	.p2align	6, 0x0
	.amdhsa_kernel fft_rtc_fwd_len1734_factors_17_17_6_wgs_102_tpt_102_halfLds_sp_op_CI_CI_unitstride_sbrr_dirReg
		.amdhsa_group_segment_fixed_size 0
		.amdhsa_private_segment_fixed_size 0
		.amdhsa_kernarg_size 104
		.amdhsa_user_sgpr_count 6
		.amdhsa_user_sgpr_private_segment_buffer 1
		.amdhsa_user_sgpr_dispatch_ptr 0
		.amdhsa_user_sgpr_queue_ptr 0
		.amdhsa_user_sgpr_kernarg_segment_ptr 1
		.amdhsa_user_sgpr_dispatch_id 0
		.amdhsa_user_sgpr_flat_scratch_init 0
		.amdhsa_user_sgpr_private_segment_size 0
		.amdhsa_uses_dynamic_stack 0
		.amdhsa_system_sgpr_private_segment_wavefront_offset 0
		.amdhsa_system_sgpr_workgroup_id_x 1
		.amdhsa_system_sgpr_workgroup_id_y 0
		.amdhsa_system_sgpr_workgroup_id_z 0
		.amdhsa_system_sgpr_workgroup_info 0
		.amdhsa_system_vgpr_workitem_id 0
		.amdhsa_next_free_vgpr 90
		.amdhsa_next_free_sgpr 28
		.amdhsa_reserve_vcc 1
		.amdhsa_reserve_flat_scratch 0
		.amdhsa_float_round_mode_32 0
		.amdhsa_float_round_mode_16_64 0
		.amdhsa_float_denorm_mode_32 3
		.amdhsa_float_denorm_mode_16_64 3
		.amdhsa_dx10_clamp 1
		.amdhsa_ieee_mode 1
		.amdhsa_fp16_overflow 0
		.amdhsa_exception_fp_ieee_invalid_op 0
		.amdhsa_exception_fp_denorm_src 0
		.amdhsa_exception_fp_ieee_div_zero 0
		.amdhsa_exception_fp_ieee_overflow 0
		.amdhsa_exception_fp_ieee_underflow 0
		.amdhsa_exception_fp_ieee_inexact 0
		.amdhsa_exception_int_div_zero 0
	.end_amdhsa_kernel
	.text
.Lfunc_end0:
	.size	fft_rtc_fwd_len1734_factors_17_17_6_wgs_102_tpt_102_halfLds_sp_op_CI_CI_unitstride_sbrr_dirReg, .Lfunc_end0-fft_rtc_fwd_len1734_factors_17_17_6_wgs_102_tpt_102_halfLds_sp_op_CI_CI_unitstride_sbrr_dirReg
                                        ; -- End function
	.section	.AMDGPU.csdata,"",@progbits
; Kernel info:
; codeLenInByte = 14368
; NumSgprs: 32
; NumVgprs: 90
; ScratchSize: 0
; MemoryBound: 0
; FloatMode: 240
; IeeeMode: 1
; LDSByteSize: 0 bytes/workgroup (compile time only)
; SGPRBlocks: 3
; VGPRBlocks: 22
; NumSGPRsForWavesPerEU: 32
; NumVGPRsForWavesPerEU: 90
; Occupancy: 2
; WaveLimiterHint : 1
; COMPUTE_PGM_RSRC2:SCRATCH_EN: 0
; COMPUTE_PGM_RSRC2:USER_SGPR: 6
; COMPUTE_PGM_RSRC2:TRAP_HANDLER: 0
; COMPUTE_PGM_RSRC2:TGID_X_EN: 1
; COMPUTE_PGM_RSRC2:TGID_Y_EN: 0
; COMPUTE_PGM_RSRC2:TGID_Z_EN: 0
; COMPUTE_PGM_RSRC2:TIDIG_COMP_CNT: 0
	.type	__hip_cuid_f2dfdae5e89d0ee8,@object ; @__hip_cuid_f2dfdae5e89d0ee8
	.section	.bss,"aw",@nobits
	.globl	__hip_cuid_f2dfdae5e89d0ee8
__hip_cuid_f2dfdae5e89d0ee8:
	.byte	0                               ; 0x0
	.size	__hip_cuid_f2dfdae5e89d0ee8, 1

	.ident	"AMD clang version 19.0.0git (https://github.com/RadeonOpenCompute/llvm-project roc-6.4.0 25133 c7fe45cf4b819c5991fe208aaa96edf142730f1d)"
	.section	".note.GNU-stack","",@progbits
	.addrsig
	.addrsig_sym __hip_cuid_f2dfdae5e89d0ee8
	.amdgpu_metadata
---
amdhsa.kernels:
  - .args:
      - .actual_access:  read_only
        .address_space:  global
        .offset:         0
        .size:           8
        .value_kind:     global_buffer
      - .offset:         8
        .size:           8
        .value_kind:     by_value
      - .actual_access:  read_only
        .address_space:  global
        .offset:         16
        .size:           8
        .value_kind:     global_buffer
      - .actual_access:  read_only
        .address_space:  global
        .offset:         24
        .size:           8
        .value_kind:     global_buffer
      - .actual_access:  read_only
        .address_space:  global
        .offset:         32
        .size:           8
        .value_kind:     global_buffer
      - .offset:         40
        .size:           8
        .value_kind:     by_value
      - .actual_access:  read_only
        .address_space:  global
        .offset:         48
        .size:           8
        .value_kind:     global_buffer
      - .actual_access:  read_only
        .address_space:  global
        .offset:         56
        .size:           8
        .value_kind:     global_buffer
      - .offset:         64
        .size:           4
        .value_kind:     by_value
      - .actual_access:  read_only
        .address_space:  global
        .offset:         72
        .size:           8
        .value_kind:     global_buffer
      - .actual_access:  read_only
        .address_space:  global
        .offset:         80
        .size:           8
        .value_kind:     global_buffer
      - .actual_access:  read_only
        .address_space:  global
        .offset:         88
        .size:           8
        .value_kind:     global_buffer
      - .actual_access:  write_only
        .address_space:  global
        .offset:         96
        .size:           8
        .value_kind:     global_buffer
    .group_segment_fixed_size: 0
    .kernarg_segment_align: 8
    .kernarg_segment_size: 104
    .language:       OpenCL C
    .language_version:
      - 2
      - 0
    .max_flat_workgroup_size: 102
    .name:           fft_rtc_fwd_len1734_factors_17_17_6_wgs_102_tpt_102_halfLds_sp_op_CI_CI_unitstride_sbrr_dirReg
    .private_segment_fixed_size: 0
    .sgpr_count:     32
    .sgpr_spill_count: 0
    .symbol:         fft_rtc_fwd_len1734_factors_17_17_6_wgs_102_tpt_102_halfLds_sp_op_CI_CI_unitstride_sbrr_dirReg.kd
    .uniform_work_group_size: 1
    .uses_dynamic_stack: false
    .vgpr_count:     90
    .vgpr_spill_count: 0
    .wavefront_size: 64
amdhsa.target:   amdgcn-amd-amdhsa--gfx906
amdhsa.version:
  - 1
  - 2
...

	.end_amdgpu_metadata
